;; amdgpu-corpus repo=ROCm/rocFFT kind=compiled arch=gfx90a opt=O3
	.text
	.amdgcn_target "amdgcn-amd-amdhsa--gfx90a"
	.amdhsa_code_object_version 6
	.protected	bluestein_single_back_len1014_dim1_dp_op_CI_CI ; -- Begin function bluestein_single_back_len1014_dim1_dp_op_CI_CI
	.globl	bluestein_single_back_len1014_dim1_dp_op_CI_CI
	.p2align	8
	.type	bluestein_single_back_len1014_dim1_dp_op_CI_CI,@function
bluestein_single_back_len1014_dim1_dp_op_CI_CI: ; @bluestein_single_back_len1014_dim1_dp_op_CI_CI
; %bb.0:
	s_load_dwordx4 s[16:19], s[4:5], 0x28
	v_mul_u32_u24_e32 v1, 0x349, v0
	v_lshrrev_b32_e32 v72, 16, v1
	v_lshl_add_u32 v8, s6, 1, v72
	v_mov_b32_e32 v9, 0
	s_waitcnt lgkmcnt(0)
	v_cmp_gt_u64_e32 vcc, s[16:17], v[8:9]
	s_and_saveexec_b64 s[0:1], vcc
	s_cbranch_execz .LBB0_10
; %bb.1:
	s_load_dwordx4 s[0:3], s[4:5], 0x18
	v_mul_lo_u16_e32 v1, 0x4e, v72
	v_sub_u16_e32 v232, v0, v1
	v_mov_b32_e32 v12, 0x4e0
	v_accvgpr_write_b32 a0, v8
	s_waitcnt lgkmcnt(0)
	s_load_dwordx4 s[8:11], s[0:1], 0x0
	s_load_dwordx4 s[12:15], s[4:5], 0x0
	s_mov_b32 s28, 0x42a4c3d2
	s_mov_b32 s38, 0x66966769
	s_mov_b32 s22, 0x2ef20147
	s_waitcnt lgkmcnt(0)
	v_mad_u64_u32 v[0:1], s[0:1], s10, v8, 0
	v_mov_b32_e32 v4, v1
	v_mad_u64_u32 v[2:3], s[0:1], s8, v232, 0
	v_mad_u64_u32 v[4:5], s[0:1], s11, v8, v[4:5]
	v_mov_b32_e32 v6, v3
	v_mov_b32_e32 v1, v4
	v_mad_u64_u32 v[4:5], s[0:1], s9, v232, v[6:7]
	v_lshlrev_b64 v[0:1], 4, v[0:1]
	v_mov_b32_e32 v3, v4
	v_mov_b32_e32 v4, s19
	v_add_co_u32_e32 v5, vcc, s18, v0
	v_addc_co_u32_e32 v4, vcc, v4, v1, vcc
	v_lshlrev_b64 v[0:1], 4, v[2:3]
	v_add_co_u32_e32 v0, vcc, v5, v0
	v_addc_co_u32_e32 v1, vcc, v4, v1, vcc
	v_mad_u64_u32 v[4:5], s[6:7], s8, v12, v[0:1]
	s_mul_i32 s6, s9, 0x4e0
	global_load_dwordx4 v[52:55], v[0:1], off
	v_lshlrev_b32_e32 v2, 4, v232
	v_add_u32_e32 v5, s6, v5
	global_load_dwordx4 v[36:39], v2, s[12:13]
	global_load_dwordx4 v[14:17], v2, s[12:13] offset:1248
	v_mad_u64_u32 v[6:7], s[10:11], s8, v12, v[4:5]
	v_add_u32_e32 v7, s6, v7
	global_load_dwordx4 v[60:63], v[4:5], off
	global_load_dwordx4 v[56:59], v[6:7], off
	v_mad_u64_u32 v[8:9], s[10:11], s8, v12, v[6:7]
	v_add_u32_e32 v9, s6, v9
	global_load_dwordx4 v[114:117], v2, s[12:13] offset:2496
	global_load_dwordx4 v[4:7], v2, s[12:13] offset:3744
	v_mad_u64_u32 v[10:11], s[10:11], s8, v12, v[8:9]
	v_mov_b32_e32 v3, s13
	v_add_co_u32_e64 v239, s[0:1], s12, v2
	v_add_u32_e32 v11, s6, v11
	v_addc_co_u32_e64 v3, vcc, 0, v3, s[0:1]
	global_load_dwordx4 v[68:71], v[8:9], off
	global_load_dwordx4 v[64:67], v[10:11], off
	s_movk_i32 s7, 0x1000
	v_mad_u64_u32 v[10:11], s[10:11], s8, v12, v[10:11]
	v_add_co_u32_e32 v8, vcc, s7, v239
	v_add_u32_e32 v11, s6, v11
	v_addc_co_u32_e32 v9, vcc, 0, v3, vcc
	global_load_dwordx4 v[74:77], v[10:11], off
	global_load_dwordx4 v[40:43], v[8:9], off offset:896
	global_load_dwordx4 v[18:21], v[8:9], off offset:2144
	v_mad_u64_u32 v[10:11], s[10:11], s8, v12, v[10:11]
	v_add_u32_e32 v11, s6, v11
	global_load_dwordx4 v[78:81], v[10:11], off
	v_mad_u64_u32 v[10:11], s[10:11], s8, v12, v[10:11]
	s_movk_i32 s7, 0x2000
	v_add_u32_e32 v11, s6, v11
	v_add_co_u32_e32 v28, vcc, s7, v239
	global_load_dwordx4 v[82:85], v[10:11], off
	v_addc_co_u32_e32 v29, vcc, 0, v3, vcc
	global_load_dwordx4 v[44:47], v[8:9], off offset:3392
	global_load_dwordx4 v[22:25], v[28:29], off offset:544
	v_mad_u64_u32 v[8:9], s[10:11], s8, v12, v[10:11]
	v_add_u32_e32 v9, s6, v9
	global_load_dwordx4 v[86:89], v[8:9], off
	v_mad_u64_u32 v[8:9], s[10:11], s8, v12, v[8:9]
	v_add_u32_e32 v9, s6, v9
	global_load_dwordx4 v[90:93], v[8:9], off
	global_load_dwordx4 v[48:51], v[28:29], off offset:1792
	global_load_dwordx4 v[110:113], v[28:29], off offset:3040
	s_movk_i32 s7, 0x3000
	v_mad_u64_u32 v[28:29], s[10:11], s8, v12, v[8:9]
	v_add_co_u32_e32 v106, vcc, s7, v239
	v_add_u32_e32 v29, s6, v29
	v_addc_co_u32_e32 v107, vcc, 0, v3, vcc
	global_load_dwordx4 v[94:97], v[28:29], off
	global_load_dwordx4 v[8:11], v[106:107], off offset:192
	v_mad_u64_u32 v[32:33], s[10:11], s8, v12, v[28:29]
	v_add_u32_e32 v33, s6, v33
	global_load_dwordx4 v[98:101], v[32:33], off
	global_load_dwordx4 v[26:29], v[106:107], off offset:1440
	v_mad_u64_u32 v[108:109], s[8:9], s8, v12, v[32:33]
	v_add_u32_e32 v109, s6, v109
	global_load_dwordx4 v[102:105], v[108:109], off
	global_load_dwordx4 v[32:35], v[106:107], off offset:2688
	v_and_b32_e32 v0, 1, v72
	v_mov_b32_e32 v1, 0x3f60
	v_cmp_eq_u32_e32 vcc, 1, v0
	v_cndmask_b32_e32 v238, 0, v1, vcc
	v_add_u32_e32 v233, v238, v2
	s_load_dwordx2 s[6:7], s[4:5], 0x38
	s_load_dwordx4 s[8:11], s[2:3], 0x0
	s_mov_b32 s26, 0x24c2f84
	s_mov_b32 s36, 0x4bc48dbf
	;; [unrolled: 1-line block ×6, first 2 shown]
	s_waitcnt vmcnt(24)
	v_mul_f64 v[106:107], v[54:55], v[38:39]
	v_fmac_f64_e32 v[106:107], v[52:53], v[36:37]
	v_mul_f64 v[52:53], v[52:53], v[38:39]
	v_fma_f64 v[108:109], v[54:55], v[36:37], -v[52:53]
	s_waitcnt vmcnt(22)
	v_mul_f64 v[52:53], v[62:63], v[16:17]
	v_mul_f64 v[54:55], v[60:61], v[16:17]
	v_fmac_f64_e32 v[52:53], v[60:61], v[14:15]
	v_fma_f64 v[54:55], v[62:63], v[14:15], -v[54:55]
	ds_write_b128 v233, v[52:55] offset:1248
	s_waitcnt vmcnt(20)
	v_mul_f64 v[52:53], v[58:59], v[116:117]
	v_mul_f64 v[54:55], v[56:57], v[116:117]
	v_fmac_f64_e32 v[52:53], v[56:57], v[114:115]
	v_fma_f64 v[54:55], v[58:59], v[114:115], -v[54:55]
	ds_write_b128 v233, v[52:55] offset:2496
	ds_write_b128 v233, v[106:109]
	v_accvgpr_write_b32 a26, v114
	s_mov_b32 s4, 0x1ea71119
	s_waitcnt vmcnt(18)
	v_mul_f64 v[52:53], v[70:71], v[6:7]
	v_mul_f64 v[54:55], v[68:69], v[6:7]
	v_fmac_f64_e32 v[52:53], v[68:69], v[4:5]
	v_fma_f64 v[54:55], v[70:71], v[4:5], -v[54:55]
	ds_write_b128 v233, v[52:55] offset:3744
	s_mov_b32 s39, 0xbfefc445
	s_mov_b32 s2, 0xebaa3ed8
	;; [unrolled: 1-line block ×4, first 2 shown]
	s_waitcnt vmcnt(15)
	v_mul_f64 v[52:53], v[66:67], v[42:43]
	v_mul_f64 v[54:55], v[64:65], v[42:43]
	v_fmac_f64_e32 v[52:53], v[64:65], v[40:41]
	v_fma_f64 v[54:55], v[66:67], v[40:41], -v[54:55]
	ds_write_b128 v233, v[52:55] offset:4992
	s_waitcnt vmcnt(14)
	v_mul_f64 v[52:53], v[76:77], v[20:21]
	v_mul_f64 v[54:55], v[74:75], v[20:21]
	v_fmac_f64_e32 v[52:53], v[74:75], v[18:19]
	v_fma_f64 v[54:55], v[76:77], v[18:19], -v[54:55]
	ds_write_b128 v233, v[52:55] offset:6240
	s_mov_b32 s27, 0xbfe5384d
	s_mov_b32 s24, 0xd0032e0c
	s_mov_b32 s37, 0xbfcea1e5
	s_mov_b32 s34, 0x93053d00
	s_waitcnt vmcnt(11)
	v_mul_f64 v[52:53], v[80:81], v[46:47]
	v_mul_f64 v[54:55], v[78:79], v[46:47]
	v_fmac_f64_e32 v[52:53], v[78:79], v[44:45]
	v_fma_f64 v[54:55], v[80:81], v[44:45], -v[54:55]
	ds_write_b128 v233, v[52:55] offset:7488
	s_waitcnt vmcnt(10)
	v_mul_f64 v[52:53], v[84:85], v[24:25]
	v_mul_f64 v[54:55], v[82:83], v[24:25]
	v_fmac_f64_e32 v[52:53], v[82:83], v[22:23]
	v_fma_f64 v[54:55], v[84:85], v[22:23], -v[54:55]
	ds_write_b128 v233, v[52:55] offset:8736
	s_waitcnt vmcnt(7)
	v_mul_f64 v[52:53], v[88:89], v[50:51]
	v_mul_f64 v[54:55], v[86:87], v[50:51]
	v_fmac_f64_e32 v[52:53], v[86:87], v[48:49]
	v_fma_f64 v[54:55], v[88:89], v[48:49], -v[54:55]
	ds_write_b128 v233, v[52:55] offset:9984
	s_waitcnt vmcnt(6)
	v_mul_f64 v[52:53], v[92:93], v[112:113]
	v_mul_f64 v[54:55], v[90:91], v[112:113]
	v_fmac_f64_e32 v[52:53], v[90:91], v[110:111]
	v_fma_f64 v[54:55], v[92:93], v[110:111], -v[54:55]
	ds_write_b128 v233, v[52:55] offset:11232
	s_waitcnt vmcnt(4)
	v_mul_f64 v[52:53], v[96:97], v[10:11]
	v_mul_f64 v[54:55], v[94:95], v[10:11]
	v_fmac_f64_e32 v[52:53], v[94:95], v[8:9]
	v_fma_f64 v[54:55], v[96:97], v[8:9], -v[54:55]
	ds_write_b128 v233, v[52:55] offset:12480
	s_waitcnt vmcnt(2)
	v_mul_f64 v[52:53], v[100:101], v[28:29]
	v_mul_f64 v[54:55], v[98:99], v[28:29]
	v_fmac_f64_e32 v[52:53], v[98:99], v[26:27]
	v_fma_f64 v[54:55], v[100:101], v[26:27], -v[54:55]
	ds_write_b128 v233, v[52:55] offset:13728
	s_waitcnt vmcnt(0)
	v_mul_f64 v[52:53], v[104:105], v[34:35]
	v_mul_f64 v[54:55], v[102:103], v[34:35]
	v_fmac_f64_e32 v[52:53], v[102:103], v[32:33]
	v_fma_f64 v[54:55], v[104:105], v[32:33], -v[54:55]
	ds_write_b128 v233, v[52:55] offset:14976
	s_waitcnt lgkmcnt(0)
	s_barrier
	ds_read_b128 v[84:87], v233
	ds_read_b128 v[96:99], v233 offset:1248
	ds_read_b128 v[92:95], v233 offset:2496
	;; [unrolled: 1-line block ×12, first 2 shown]
	s_waitcnt lgkmcnt(11)
	v_add_f64 v[52:53], v[84:85], v[96:97]
	v_add_f64 v[54:55], v[86:87], v[98:99]
	s_waitcnt lgkmcnt(10)
	v_add_f64 v[52:53], v[52:53], v[92:93]
	v_add_f64 v[54:55], v[54:55], v[94:95]
	;; [unrolled: 3-line block ×8, first 2 shown]
	s_waitcnt lgkmcnt(3)
	v_add_f64 v[52:53], v[52:53], v[76:77]
	v_accvgpr_write_b32 a22, v110
	v_add_f64 v[54:55], v[54:55], v[78:79]
	s_waitcnt lgkmcnt(2)
	v_add_f64 v[52:53], v[52:53], v[88:89]
	v_accvgpr_write_b32 a23, v111
	v_accvgpr_write_b32 a24, v112
	;; [unrolled: 1-line block ×3, first 2 shown]
	v_add_f64 v[54:55], v[54:55], v[90:91]
	s_waitcnt lgkmcnt(1)
	v_add_f64 v[52:53], v[52:53], v[100:101]
	s_waitcnt lgkmcnt(0)
	v_add_f64 v[110:111], v[98:99], v[106:107]
	v_add_f64 v[98:99], v[98:99], -v[106:107]
	v_accvgpr_write_b32 a27, v115
	v_accvgpr_write_b32 a28, v116
	;; [unrolled: 1-line block ×3, first 2 shown]
	v_add_f64 v[54:55], v[54:55], v[102:103]
	v_add_f64 v[52:53], v[52:53], v[104:105]
	v_add_f64 v[108:109], v[96:97], v[104:105]
	v_add_f64 v[96:97], v[96:97], -v[104:105]
	v_mul_f64 v[104:105], v[98:99], s[18:19]
	s_mov_b32 s17, 0x3fec55a7
	v_mul_f64 v[116:117], v[98:99], s[28:29]
	s_mov_b32 s5, 0x3fe22d96
	;; [unrolled: 2-line block ×6, first 2 shown]
	v_add_f64 v[54:55], v[54:55], v[106:107]
	v_fma_f64 v[106:107], v[108:109], s[16:17], -v[104:105]
	v_mul_f64 v[112:113], v[96:97], s[18:19]
	v_fmac_f64_e32 v[104:105], s[16:17], v[108:109]
	v_fma_f64 v[118:119], v[108:109], s[4:5], -v[116:117]
	v_mul_f64 v[120:121], v[96:97], s[28:29]
	v_fmac_f64_e32 v[116:117], s[4:5], v[108:109]
	;; [unrolled: 3-line block ×6, first 2 shown]
	v_add_f64 v[106:107], v[84:85], v[106:107]
	v_fma_f64 v[114:115], s[16:17], v[110:111], v[112:113]
	v_add_f64 v[104:105], v[84:85], v[104:105]
	v_fma_f64 v[112:113], v[110:111], s[16:17], -v[112:113]
	v_add_f64 v[118:119], v[84:85], v[118:119]
	v_fma_f64 v[122:123], s[4:5], v[110:111], v[120:121]
	v_add_f64 v[116:117], v[84:85], v[116:117]
	v_fma_f64 v[120:121], v[110:111], s[4:5], -v[120:121]
	;; [unrolled: 4-line block ×6, first 2 shown]
	v_add_f64 v[98:99], v[94:95], v[102:103]
	v_add_f64 v[94:95], v[94:95], -v[102:103]
	v_add_f64 v[114:115], v[86:87], v[114:115]
	v_add_f64 v[112:113], v[86:87], v[112:113]
	;; [unrolled: 1-line block ×13, first 2 shown]
	v_add_f64 v[92:93], v[92:93], -v[100:101]
	v_mul_f64 v[100:101], v[94:95], s[28:29]
	v_fma_f64 v[102:103], v[96:97], s[4:5], -v[100:101]
	v_add_f64 v[102:103], v[102:103], v[106:107]
	v_mul_f64 v[106:107], v[92:93], s[28:29]
	v_fmac_f64_e32 v[100:101], s[4:5], v[96:97]
	v_fma_f64 v[108:109], s[4:5], v[98:99], v[106:107]
	v_add_f64 v[100:101], v[100:101], v[104:105]
	v_fma_f64 v[104:105], v[98:99], s[4:5], -v[106:107]
	v_mul_f64 v[106:107], v[94:95], s[22:23]
	v_fma_f64 v[110:111], v[96:97], s[20:21], -v[106:107]
	v_fmac_f64_e32 v[106:107], s[20:21], v[96:97]
	v_add_f64 v[104:105], v[104:105], v[112:113]
	v_mul_f64 v[112:113], v[92:93], s[22:23]
	v_add_f64 v[106:107], v[106:107], v[116:117]
	v_mul_f64 v[116:117], v[94:95], s[36:37]
	v_add_f64 v[108:109], v[108:109], v[114:115]
	v_add_f64 v[110:111], v[110:111], v[118:119]
	v_fma_f64 v[114:115], s[20:21], v[98:99], v[112:113]
	v_fma_f64 v[112:113], v[98:99], s[20:21], -v[112:113]
	v_fma_f64 v[118:119], v[96:97], s[34:35], -v[116:117]
	v_fmac_f64_e32 v[116:117], s[34:35], v[96:97]
	s_mov_b32 s41, 0x3fe5384d
	s_mov_b32 s40, s26
	v_add_f64 v[112:113], v[112:113], v[120:121]
	v_mul_f64 v[120:121], v[92:93], s[36:37]
	v_add_f64 v[116:117], v[116:117], v[124:125]
	v_mul_f64 v[124:125], v[94:95], s[40:41]
	v_add_f64 v[114:115], v[114:115], v[122:123]
	v_add_f64 v[118:119], v[118:119], v[126:127]
	v_fma_f64 v[122:123], s[34:35], v[98:99], v[120:121]
	v_fma_f64 v[120:121], v[98:99], s[34:35], -v[120:121]
	v_fma_f64 v[126:127], v[96:97], s[24:25], -v[124:125]
	v_fmac_f64_e32 v[124:125], s[24:25], v[96:97]
	s_mov_b32 s31, 0x3fefc445
	s_mov_b32 s30, s38
	v_add_f64 v[120:121], v[120:121], v[128:129]
	v_mul_f64 v[128:129], v[92:93], s[40:41]
	v_add_f64 v[124:125], v[124:125], v[132:133]
	v_mul_f64 v[132:133], v[94:95], s[30:31]
	s_mov_b32 s19, 0x3fddbe06
	v_add_f64 v[122:123], v[122:123], v[130:131]
	v_add_f64 v[126:127], v[126:127], v[134:135]
	v_fma_f64 v[130:131], s[24:25], v[98:99], v[128:129]
	v_fma_f64 v[128:129], v[98:99], s[24:25], -v[128:129]
	v_fma_f64 v[134:135], v[96:97], s[2:3], -v[132:133]
	v_fmac_f64_e32 v[132:133], s[2:3], v[96:97]
	v_mul_f64 v[94:95], v[94:95], s[18:19]
	v_add_f64 v[128:129], v[128:129], v[136:137]
	v_mul_f64 v[136:137], v[92:93], s[30:31]
	v_add_f64 v[132:133], v[132:133], v[140:141]
	v_fma_f64 v[140:141], v[96:97], s[16:17], -v[94:95]
	v_mul_f64 v[92:93], v[92:93], s[18:19]
	v_fmac_f64_e32 v[94:95], s[16:17], v[96:97]
	v_add_f64 v[134:135], v[134:135], v[142:143]
	v_fma_f64 v[142:143], s[16:17], v[98:99], v[92:93]
	v_add_f64 v[84:85], v[94:95], v[84:85]
	v_fma_f64 v[92:93], v[98:99], s[16:17], -v[92:93]
	v_add_f64 v[94:95], v[82:83], v[90:91]
	v_add_f64 v[82:83], v[82:83], -v[90:91]
	v_add_f64 v[86:87], v[92:93], v[86:87]
	v_add_f64 v[92:93], v[80:81], v[88:89]
	v_add_f64 v[80:81], v[80:81], -v[88:89]
	v_mul_f64 v[88:89], v[82:83], s[38:39]
	v_fma_f64 v[90:91], v[92:93], s[2:3], -v[88:89]
	v_mul_f64 v[96:97], v[80:81], s[38:39]
	v_fmac_f64_e32 v[88:89], s[2:3], v[92:93]
	v_add_f64 v[130:131], v[130:131], v[138:139]
	v_fma_f64 v[138:139], s[2:3], v[98:99], v[136:137]
	v_fma_f64 v[136:137], v[98:99], s[2:3], -v[136:137]
	v_fma_f64 v[98:99], s[2:3], v[94:95], v[96:97]
	v_add_f64 v[88:89], v[88:89], v[100:101]
	v_fma_f64 v[96:97], v[94:95], s[2:3], -v[96:97]
	v_mul_f64 v[100:101], v[82:83], s[36:37]
	v_add_f64 v[90:91], v[90:91], v[102:103]
	v_add_f64 v[96:97], v[96:97], v[104:105]
	v_fma_f64 v[102:103], v[92:93], s[34:35], -v[100:101]
	v_mul_f64 v[104:105], v[80:81], s[36:37]
	v_fmac_f64_e32 v[100:101], s[34:35], v[92:93]
	s_mov_b32 s43, 0x3fedeba7
	s_mov_b32 s42, s22
	v_add_f64 v[98:99], v[98:99], v[108:109]
	v_fma_f64 v[108:109], s[34:35], v[94:95], v[104:105]
	v_add_f64 v[100:101], v[100:101], v[106:107]
	v_fma_f64 v[104:105], v[94:95], s[34:35], -v[104:105]
	v_mul_f64 v[106:107], v[82:83], s[42:43]
	v_add_f64 v[102:103], v[102:103], v[110:111]
	v_add_f64 v[104:105], v[104:105], v[112:113]
	v_fma_f64 v[110:111], v[92:93], s[20:21], -v[106:107]
	v_mul_f64 v[112:113], v[80:81], s[42:43]
	v_fmac_f64_e32 v[106:107], s[20:21], v[92:93]
	v_add_f64 v[108:109], v[108:109], v[114:115]
	v_fma_f64 v[114:115], s[20:21], v[94:95], v[112:113]
	v_add_f64 v[106:107], v[106:107], v[116:117]
	v_fma_f64 v[112:113], v[94:95], s[20:21], -v[112:113]
	v_mul_f64 v[116:117], v[82:83], s[18:19]
	v_add_f64 v[110:111], v[110:111], v[118:119]
	v_add_f64 v[112:113], v[112:113], v[120:121]
	v_fma_f64 v[118:119], v[92:93], s[16:17], -v[116:117]
	v_mul_f64 v[120:121], v[80:81], s[18:19]
	v_fmac_f64_e32 v[116:117], s[16:17], v[92:93]
	v_add_f64 v[114:115], v[114:115], v[122:123]
	v_fma_f64 v[122:123], s[16:17], v[94:95], v[120:121]
	v_add_f64 v[116:117], v[116:117], v[124:125]
	v_fma_f64 v[120:121], v[94:95], s[16:17], -v[120:121]
	v_mul_f64 v[124:125], v[82:83], s[28:29]
	v_add_f64 v[118:119], v[118:119], v[126:127]
	v_add_f64 v[120:121], v[120:121], v[128:129]
	v_fma_f64 v[126:127], v[92:93], s[4:5], -v[124:125]
	v_mul_f64 v[128:129], v[80:81], s[28:29]
	v_mul_f64 v[80:81], v[80:81], s[26:27]
	v_add_f64 v[126:127], v[126:127], v[134:135]
	v_fmac_f64_e32 v[124:125], s[4:5], v[92:93]
	v_mul_f64 v[82:83], v[82:83], s[26:27]
	v_fma_f64 v[134:135], s[24:25], v[94:95], v[80:81]
	v_fma_f64 v[80:81], v[94:95], s[24:25], -v[80:81]
	v_add_f64 v[124:125], v[124:125], v[132:133]
	v_fma_f64 v[132:133], v[92:93], s[24:25], -v[82:83]
	v_fmac_f64_e32 v[82:83], s[24:25], v[92:93]
	v_add_f64 v[80:81], v[80:81], v[86:87]
	v_add_f64 v[86:87], v[74:75], v[78:79]
	v_add_f64 v[74:75], v[74:75], -v[78:79]
	v_add_f64 v[82:83], v[82:83], v[84:85]
	v_add_f64 v[84:85], v[72:73], v[76:77]
	v_add_f64 v[72:73], v[72:73], -v[76:77]
	v_mul_f64 v[76:77], v[74:75], s[22:23]
	v_fma_f64 v[78:79], v[84:85], s[20:21], -v[76:77]
	v_add_f64 v[78:79], v[78:79], v[90:91]
	v_mul_f64 v[90:91], v[72:73], s[22:23]
	v_fmac_f64_e32 v[76:77], s[20:21], v[84:85]
	v_fma_f64 v[92:93], s[20:21], v[86:87], v[90:91]
	v_add_f64 v[76:77], v[76:77], v[88:89]
	v_fma_f64 v[88:89], v[86:87], s[20:21], -v[90:91]
	v_mul_f64 v[90:91], v[74:75], s[40:41]
	v_add_f64 v[122:123], v[122:123], v[130:131]
	v_fma_f64 v[130:131], s[4:5], v[94:95], v[128:129]
	v_fma_f64 v[128:129], v[94:95], s[4:5], -v[128:129]
	v_fma_f64 v[94:95], v[84:85], s[24:25], -v[90:91]
	v_fmac_f64_e32 v[90:91], s[24:25], v[84:85]
	v_add_f64 v[88:89], v[88:89], v[96:97]
	v_mul_f64 v[96:97], v[72:73], s[40:41]
	v_add_f64 v[90:91], v[90:91], v[100:101]
	v_mul_f64 v[100:101], v[74:75], s[18:19]
	v_add_f64 v[92:93], v[92:93], v[98:99]
	v_add_f64 v[94:95], v[94:95], v[102:103]
	v_fma_f64 v[98:99], s[24:25], v[86:87], v[96:97]
	v_fma_f64 v[96:97], v[86:87], s[24:25], -v[96:97]
	v_fma_f64 v[102:103], v[84:85], s[16:17], -v[100:101]
	v_fmac_f64_e32 v[100:101], s[16:17], v[84:85]
	v_add_f64 v[96:97], v[96:97], v[104:105]
	v_mul_f64 v[104:105], v[72:73], s[18:19]
	v_add_f64 v[100:101], v[100:101], v[106:107]
	v_mul_f64 v[106:107], v[74:75], s[38:39]
	v_add_f64 v[98:99], v[98:99], v[108:109]
	v_add_f64 v[102:103], v[102:103], v[110:111]
	v_fma_f64 v[108:109], s[16:17], v[86:87], v[104:105]
	v_fma_f64 v[104:105], v[86:87], s[16:17], -v[104:105]
	v_fma_f64 v[110:111], v[84:85], s[2:3], -v[106:107]
	v_fmac_f64_e32 v[106:107], s[2:3], v[84:85]
	s_mov_b32 s41, 0x3fcea1e5
	s_mov_b32 s40, s36
	v_add_f64 v[104:105], v[104:105], v[112:113]
	v_mul_f64 v[112:113], v[72:73], s[38:39]
	v_add_f64 v[106:107], v[106:107], v[116:117]
	v_mul_f64 v[116:117], v[74:75], s[40:41]
	s_mov_b32 s39, 0x3fea55e2
	s_mov_b32 s38, s28
	v_add_f64 v[108:109], v[108:109], v[114:115]
	v_add_f64 v[110:111], v[110:111], v[118:119]
	v_fma_f64 v[114:115], s[2:3], v[86:87], v[112:113]
	v_fma_f64 v[112:113], v[86:87], s[2:3], -v[112:113]
	v_fma_f64 v[118:119], v[84:85], s[34:35], -v[116:117]
	v_fmac_f64_e32 v[116:117], s[34:35], v[84:85]
	v_mul_f64 v[74:75], v[74:75], s[38:39]
	v_add_f64 v[112:113], v[112:113], v[120:121]
	v_mul_f64 v[120:121], v[72:73], s[40:41]
	v_add_f64 v[116:117], v[116:117], v[124:125]
	v_fma_f64 v[124:125], v[84:85], s[4:5], -v[74:75]
	v_mul_f64 v[72:73], v[72:73], s[38:39]
	v_fmac_f64_e32 v[74:75], s[4:5], v[84:85]
	v_add_f64 v[118:119], v[118:119], v[126:127]
	v_fma_f64 v[126:127], s[4:5], v[86:87], v[72:73]
	v_add_f64 v[74:75], v[74:75], v[82:83]
	v_fma_f64 v[72:73], v[86:87], s[4:5], -v[72:73]
	v_add_f64 v[82:83], v[66:67], v[70:71]
	v_add_f64 v[66:67], v[66:67], -v[70:71]
	v_add_f64 v[72:73], v[72:73], v[80:81]
	v_add_f64 v[80:81], v[64:65], v[68:69]
	v_add_f64 v[64:65], v[64:65], -v[68:69]
	v_mul_f64 v[68:69], v[66:67], s[26:27]
	v_fma_f64 v[70:71], v[80:81], s[24:25], -v[68:69]
	v_add_f64 v[70:71], v[70:71], v[78:79]
	v_mul_f64 v[78:79], v[64:65], s[26:27]
	v_fmac_f64_e32 v[68:69], s[24:25], v[80:81]
	v_fma_f64 v[84:85], s[24:25], v[82:83], v[78:79]
	v_add_f64 v[68:69], v[68:69], v[76:77]
	v_fma_f64 v[76:77], v[82:83], s[24:25], -v[78:79]
	v_mul_f64 v[78:79], v[66:67], s[30:31]
	v_add_f64 v[114:115], v[114:115], v[122:123]
	v_fma_f64 v[122:123], s[34:35], v[86:87], v[120:121]
	v_fma_f64 v[120:121], v[86:87], s[34:35], -v[120:121]
	v_add_f64 v[76:77], v[76:77], v[88:89]
	v_fma_f64 v[86:87], v[80:81], s[2:3], -v[78:79]
	v_mul_f64 v[88:89], v[64:65], s[30:31]
	v_fmac_f64_e32 v[78:79], s[2:3], v[80:81]
	v_add_f64 v[84:85], v[84:85], v[92:93]
	v_fma_f64 v[92:93], s[2:3], v[82:83], v[88:89]
	v_add_f64 v[78:79], v[78:79], v[90:91]
	v_fma_f64 v[88:89], v[82:83], s[2:3], -v[88:89]
	v_mul_f64 v[90:91], v[66:67], s[28:29]
	v_add_f64 v[86:87], v[86:87], v[94:95]
	v_add_f64 v[88:89], v[88:89], v[96:97]
	v_fma_f64 v[94:95], v[80:81], s[4:5], -v[90:91]
	v_mul_f64 v[96:97], v[64:65], s[28:29]
	v_fmac_f64_e32 v[90:91], s[4:5], v[80:81]
	v_add_f64 v[92:93], v[92:93], v[98:99]
	v_fma_f64 v[98:99], s[4:5], v[82:83], v[96:97]
	v_add_f64 v[90:91], v[90:91], v[100:101]
	v_fma_f64 v[96:97], v[82:83], s[4:5], -v[96:97]
	v_mul_f64 v[100:101], v[66:67], s[40:41]
	v_add_f64 v[142:143], v[142:143], v[150:151]
	v_add_f64 v[94:95], v[94:95], v[102:103]
	;; [unrolled: 1-line block ×3, first 2 shown]
	v_fma_f64 v[102:103], v[80:81], s[34:35], -v[100:101]
	v_mul_f64 v[104:105], v[64:65], s[40:41]
	v_fmac_f64_e32 v[100:101], s[34:35], v[80:81]
	v_add_f64 v[136:137], v[136:137], v[144:145]
	v_add_f64 v[140:141], v[140:141], v[148:149]
	v_add_f64 v[134:135], v[134:135], v[142:143]
	v_add_f64 v[98:99], v[98:99], v[108:109]
	v_fma_f64 v[108:109], s[34:35], v[82:83], v[104:105]
	v_add_f64 v[100:101], v[100:101], v[106:107]
	v_fma_f64 v[104:105], v[82:83], s[34:35], -v[104:105]
	v_mul_f64 v[106:107], v[66:67], s[18:19]
	v_add_f64 v[138:139], v[138:139], v[146:147]
	v_add_f64 v[128:129], v[128:129], v[136:137]
	;; [unrolled: 1-line block ×6, first 2 shown]
	v_fma_f64 v[110:111], v[80:81], s[16:17], -v[106:107]
	v_mul_f64 v[112:113], v[64:65], s[18:19]
	v_fmac_f64_e32 v[106:107], s[16:17], v[80:81]
	v_mul_f64 v[66:67], v[66:67], s[22:23]
	v_mul_f64 v[64:65], v[64:65], s[22:23]
	v_add_f64 v[134:135], v[58:59], -v[62:63]
	v_add_f64 v[130:131], v[130:131], v[138:139]
	v_add_f64 v[120:121], v[120:121], v[128:129]
	;; [unrolled: 1-line block ×5, first 2 shown]
	v_fma_f64 v[114:115], s[16:17], v[82:83], v[112:113]
	v_add_f64 v[106:107], v[106:107], v[116:117]
	v_fma_f64 v[112:113], v[82:83], s[16:17], -v[112:113]
	v_fma_f64 v[116:117], v[80:81], s[20:21], -v[66:67]
	v_fma_f64 v[118:119], s[20:21], v[82:83], v[64:65]
	v_fmac_f64_e32 v[66:67], s[20:21], v[80:81]
	v_fma_f64 v[64:65], v[82:83], s[20:21], -v[64:65]
	v_add_f64 v[128:129], v[56:57], v[60:61]
	v_add_f64 v[132:133], v[56:57], -v[60:61]
	v_mul_f64 v[60:61], v[134:135], s[36:37]
	v_add_f64 v[122:123], v[122:123], v[130:131]
	v_add_f64 v[112:113], v[112:113], v[120:121]
	;; [unrolled: 1-line block ×6, first 2 shown]
	v_fma_f64 v[56:57], v[128:129], s[34:35], -v[60:61]
	v_mul_f64 v[62:63], v[132:133], s[36:37]
	v_fmac_f64_e32 v[60:61], s[34:35], v[128:129]
	v_mul_f64 v[66:67], v[132:133], s[18:19]
	v_mul_f64 v[72:73], v[134:135], s[26:27]
	;; [unrolled: 1-line block ×3, first 2 shown]
	v_add_f64 v[114:115], v[114:115], v[122:123]
	v_add_f64 v[56:57], v[56:57], v[70:71]
	v_fma_f64 v[58:59], s[34:35], v[130:131], v[62:63]
	v_add_f64 v[122:123], v[60:61], v[68:69]
	v_fma_f64 v[60:61], v[130:131], s[34:35], -v[62:63]
	v_mul_f64 v[64:65], v[134:135], s[18:19]
	v_fma_f64 v[62:63], s[16:17], v[130:131], v[66:67]
	v_fma_f64 v[66:67], v[130:131], s[16:17], -v[66:67]
	v_fma_f64 v[68:69], v[128:129], s[24:25], -v[72:73]
	v_fma_f64 v[70:71], s[24:25], v[130:131], v[74:75]
	v_fmac_f64_e32 v[72:73], s[24:25], v[128:129]
	v_fma_f64 v[74:75], v[130:131], s[24:25], -v[74:75]
	v_add_f64 v[116:117], v[116:117], v[124:125]
	v_add_f64 v[124:125], v[60:61], v[76:77]
	v_fma_f64 v[60:61], v[128:129], s[16:17], -v[64:65]
	v_fmac_f64_e32 v[64:65], s[16:17], v[128:129]
	v_add_f64 v[66:67], v[66:67], v[88:89]
	v_add_f64 v[70:71], v[70:71], v[98:99]
	;; [unrolled: 1-line block ×4, first 2 shown]
	v_mul_f64 v[80:81], v[134:135], s[38:39]
	v_mul_f64 v[82:83], v[132:133], s[38:39]
	;; [unrolled: 1-line block ×6, first 2 shown]
	v_mul_lo_u16_e32 v0, 13, v232
	v_add_f64 v[58:59], v[58:59], v[84:85]
	v_add_f64 v[60:61], v[60:61], v[86:87]
	;; [unrolled: 1-line block ×5, first 2 shown]
	v_fma_f64 v[76:77], v[128:129], s[4:5], -v[80:81]
	v_fma_f64 v[78:79], s[4:5], v[130:131], v[82:83]
	v_fmac_f64_e32 v[80:81], s[4:5], v[128:129]
	v_fma_f64 v[82:83], v[130:131], s[4:5], -v[82:83]
	v_fma_f64 v[84:85], v[128:129], s[20:21], -v[88:89]
	v_fma_f64 v[86:87], s[20:21], v[130:131], v[90:91]
	v_fmac_f64_e32 v[88:89], s[20:21], v[128:129]
	v_fma_f64 v[90:91], v[130:131], s[20:21], -v[90:91]
	;; [unrolled: 4-line block ×3, first 2 shown]
	v_lshl_add_u32 v240, v0, 4, v238
	v_add_f64 v[76:77], v[76:77], v[102:103]
	v_add_f64 v[78:79], v[78:79], v[108:109]
	;; [unrolled: 1-line block ×12, first 2 shown]
	s_barrier
	ds_write_b128 v240, v[52:55]
	ds_write_b128 v240, v[56:59] offset:16
	ds_write_b128 v240, v[60:63] offset:32
	ds_write_b128 v240, v[68:71] offset:48
	ds_write_b128 v240, v[76:79] offset:64
	ds_write_b128 v240, v[84:87] offset:80
	ds_write_b128 v240, v[92:95] offset:96
	ds_write_b128 v240, v[96:99] offset:112
	ds_write_b128 v240, v[88:91] offset:128
	ds_write_b128 v240, v[80:83] offset:144
	ds_write_b128 v240, v[72:75] offset:160
	ds_write_b128 v240, v[64:67] offset:176
	ds_write_b128 v240, v[122:125] offset:192
	s_waitcnt lgkmcnt(0)
	s_barrier
	ds_read_b128 v[116:119], v233
	ds_read_b128 v[112:115], v233 offset:1248
	ds_read_b128 v[146:149], v233 offset:2704
	;; [unrolled: 1-line block ×11, first 2 shown]
	v_accvgpr_write_b32 a2, v14
	v_accvgpr_write_b32 a9, v7
	v_accvgpr_write_b32 a14, v18
	v_accvgpr_write_b32 a18, v22
	v_accvgpr_write_b32 a13, v11
	v_accvgpr_write_b32 a33, v29
	v_accvgpr_write_b32 a3, v15
	v_accvgpr_write_b32 a4, v16
	v_accvgpr_write_b32 a5, v17
	v_accvgpr_write_b32 a8, v6
	v_accvgpr_write_b32 a7, v5
	v_accvgpr_write_b32 a6, v4
	v_accvgpr_write_b32 a15, v19
	v_accvgpr_write_b32 a16, v20
	v_accvgpr_write_b32 a17, v21
	v_accvgpr_write_b32 a19, v23
	v_accvgpr_write_b32 a20, v24
	v_accvgpr_write_b32 a21, v25
	v_accvgpr_write_b32 a12, v10
	v_accvgpr_write_b32 a11, v9
	v_accvgpr_write_b32 a10, v8
	v_accvgpr_write_b32 a32, v28
	v_accvgpr_write_b32 a31, v27
	v_accvgpr_write_b32 a30, v26
	v_cmp_gt_u16_e32 vcc, 13, v232
                                        ; implicit-def: $vgpr166_vgpr167
                                        ; implicit-def: $vgpr170_vgpr171
                                        ; implicit-def: $vgpr174_vgpr175
                                        ; implicit-def: $vgpr178_vgpr179
                                        ; implicit-def: $vgpr182_vgpr183
	s_and_saveexec_b64 s[2:3], vcc
	s_cbranch_execz .LBB0_3
; %bb.2:
	ds_read_b128 v[122:125], v233 offset:2496
	ds_read_b128 v[166:169], v233 offset:5200
	;; [unrolled: 1-line block ×6, first 2 shown]
.LBB0_3:
	s_or_b64 exec, exec, s[2:3]
	s_movk_i32 s4, 0x4f
	v_mul_lo_u16_sdwa v0, v232, s4 dst_sel:DWORD dst_unused:UNUSED_PAD src0_sel:BYTE_0 src1_sel:DWORD
	v_lshrrev_b16_e32 v186, 10, v0
	v_mul_lo_u16_e32 v0, 13, v186
	v_sub_u16_e32 v0, v232, v0
	v_and_b32_e32 v187, 0xff, v0
	v_add_u16_e32 v0, 0x4e, v232
	v_mul_lo_u16_sdwa v1, v0, s4 dst_sel:DWORD dst_unused:UNUSED_PAD src0_sel:BYTE_0 src1_sel:DWORD
	v_lshrrev_b16_e32 v1, 10, v1
	v_mul_lo_u16_e32 v2, 13, v1
	v_sub_u16_e32 v0, v0, v2
	v_add_u16_e32 v2, 0x9c, v232
	v_mul_lo_u16_sdwa v3, v2, s4 dst_sel:DWORD dst_unused:UNUSED_PAD src0_sel:BYTE_0 src1_sel:DWORD
	v_lshrrev_b16_e32 v3, 10, v3
	v_mul_lo_u16_e32 v3, 13, v3
	s_movk_i32 s5, 0x50
	v_pk_mov_b32 v[52:53], s[14:15], s[14:15] op_sel:[0,1]
	v_and_b32_e32 v0, 0xff, v0
	v_sub_u16_e32 v2, v2, v3
	v_mad_u64_u32 v[54:55], s[2:3], v187, s5, v[52:53]
	v_mad_u64_u32 v[56:57], s[2:3], v0, s5, v[52:53]
	v_and_b32_e32 v188, 0xff, v2
	global_load_dwordx4 v[72:75], v[54:55], off offset:48
	global_load_dwordx4 v[76:79], v[54:55], off offset:32
	;; [unrolled: 1-line block ×3, first 2 shown]
	global_load_dwordx4 v[84:87], v[54:55], off
	global_load_dwordx4 v[88:91], v[56:57], off offset:32
	global_load_dwordx4 v[96:99], v[56:57], off offset:16
	global_load_dwordx4 v[100:103], v[54:55], off offset:64
	global_load_dwordx4 v[104:107], v[56:57], off
	global_load_dwordx4 v[92:95], v[56:57], off offset:48
	global_load_dwordx4 v[108:111], v[56:57], off offset:64
	v_mad_u64_u32 v[68:69], s[2:3], v188, s5, v[52:53]
	global_load_dwordx4 v[52:55], v[68:69], off
	global_load_dwordx4 v[64:67], v[68:69], off offset:16
	global_load_dwordx4 v[56:59], v[68:69], off offset:32
	;; [unrolled: 1-line block ×3, first 2 shown]
	s_nop 0
	global_load_dwordx4 v[68:71], v[68:69], off offset:64
	s_mov_b32 s4, 0xe8584caa
	s_mov_b32 s5, 0x3febb67a
	;; [unrolled: 1-line block ×4, first 2 shown]
	v_accvgpr_write_b32 a1, v2
	v_mul_u32_u24_e32 v2, 0x4e, v186
	v_mul_u32_u24_e32 v1, 0x4e, v1
	v_add_u32_e32 v2, v2, v187
	v_add_u32_e32 v0, v1, v0
	v_lshl_add_u32 v241, v2, 4, v238
	s_waitcnt lgkmcnt(0)
	s_barrier
	s_waitcnt vmcnt(10)
	v_mul_f64 v[218:219], v[136:137], v[90:91]
	s_waitcnt vmcnt(9)
	v_mul_f64 v[214:215], v[132:133], v[98:99]
	v_mul_f64 v[202:203], v[160:161], v[74:75]
	;; [unrolled: 1-line block ×4, first 2 shown]
	s_waitcnt vmcnt(7)
	v_mul_f64 v[212:213], v[126:127], v[106:107]
	s_waitcnt vmcnt(5)
	v_mul_f64 v[226:227], v[144:145], v[110:111]
	v_mul_f64 v[192:193], v[146:147], v[86:87]
	v_mul_f64 v[196:197], v[150:151], v[82:83]
	v_mul_f64 v[206:207], v[164:165], v[102:103]
	v_mul_f64 v[210:211], v[128:129], v[106:107]
	v_mul_f64 v[216:217], v[130:131], v[98:99]
	v_mul_f64 v[220:221], v[134:135], v[90:91]
	v_mul_f64 v[228:229], v[142:143], v[110:111]
	v_fma_f64 v[190:191], v[146:147], v[84:85], -v[190:191]
	v_fma_f64 v[146:147], v[150:151], v[80:81], -v[194:195]
	v_fmac_f64_e32 v[212:213], v[128:129], v[104:105]
	v_fma_f64 v[128:129], v[130:131], v[96:97], -v[214:215]
	v_fma_f64 v[130:131], v[134:135], v[88:89], -v[218:219]
	;; [unrolled: 1-line block ×3, first 2 shown]
	s_waitcnt vmcnt(0)
	v_mul_f64 v[142:143], v[184:185], v[70:71]
	v_mul_f64 v[198:199], v[156:157], v[78:79]
	;; [unrolled: 1-line block ×3, first 2 shown]
	v_fmac_f64_e32 v[196:197], v[152:153], v[80:81]
	v_fma_f64 v[150:151], v[158:159], v[72:73], -v[202:203]
	v_fma_f64 v[152:153], v[162:163], v[100:101], -v[206:207]
	v_fma_f64 v[206:207], v[182:183], v[68:69], -v[142:143]
	v_add_f64 v[142:143], v[116:117], v[146:147]
	v_mul_f64 v[200:201], v[154:155], v[78:79]
	v_fmac_f64_e32 v[192:193], v[148:149], v[84:85]
	v_fma_f64 v[148:149], v[154:155], v[76:77], -v[198:199]
	v_fmac_f64_e32 v[204:205], v[160:161], v[72:73]
	v_add_f64 v[154:155], v[142:143], v[150:151]
	v_add_f64 v[142:143], v[146:147], v[150:151]
	v_fmac_f64_e32 v[116:117], -0.5, v[142:143]
	v_add_f64 v[142:143], v[196:197], -v[204:205]
	v_fmac_f64_e32 v[200:201], v[156:157], v[76:77]
	v_fma_f64 v[156:157], s[4:5], v[142:143], v[116:117]
	v_fmac_f64_e32 v[116:117], s[2:3], v[142:143]
	v_add_f64 v[142:143], v[118:119], v[196:197]
	v_add_f64 v[160:161], v[142:143], v[204:205]
	;; [unrolled: 1-line block ×3, first 2 shown]
	v_mul_f64 v[208:209], v[162:163], v[102:103]
	v_fmac_f64_e32 v[118:119], -0.5, v[142:143]
	v_add_f64 v[142:143], v[146:147], -v[150:151]
	v_fmac_f64_e32 v[208:209], v[164:165], v[100:101]
	v_fma_f64 v[164:165], s[2:3], v[142:143], v[118:119]
	v_fmac_f64_e32 v[118:119], s[4:5], v[142:143]
	v_add_f64 v[142:143], v[190:191], v[148:149]
	v_add_f64 v[158:159], v[142:143], v[152:153]
	;; [unrolled: 1-line block ×3, first 2 shown]
	v_fmac_f64_e32 v[190:191], -0.5, v[142:143]
	v_add_f64 v[142:143], v[200:201], -v[208:209]
	v_mul_f64 v[230:231], v[168:169], v[54:55]
	v_fma_f64 v[162:163], s[4:5], v[142:143], v[190:191]
	v_fmac_f64_e32 v[190:191], s[2:3], v[142:143]
	v_add_f64 v[142:143], v[192:193], v[200:201]
	v_mul_f64 v[120:121], v[166:167], v[54:55]
	v_fmac_f64_e32 v[220:221], v[136:137], v[88:89]
	v_fma_f64 v[136:137], v[166:167], v[52:53], -v[230:231]
	v_add_f64 v[166:167], v[142:143], v[208:209]
	v_add_f64 v[142:143], v[200:201], v[208:209]
	v_mul_f64 v[224:225], v[138:139], v[94:95]
	v_fmac_f64_e32 v[192:193], -0.5, v[142:143]
	v_add_f64 v[142:143], v[148:149], -v[152:153]
	v_mul_f64 v[222:223], v[140:141], v[94:95]
	v_mul_f64 v[242:243], v[170:171], v[66:67]
	v_fmac_f64_e32 v[224:225], v[140:141], v[92:93]
	v_mul_f64 v[140:141], v[176:177], v[58:59]
	v_fma_f64 v[148:149], s[2:3], v[142:143], v[192:193]
	v_fmac_f64_e32 v[192:193], s[4:5], v[142:143]
	v_mul_f64 v[236:237], v[172:173], v[66:67]
	v_fmac_f64_e32 v[120:121], v[168:169], v[52:53]
	v_fmac_f64_e32 v[242:243], v[172:173], v[64:65]
	v_fma_f64 v[194:195], v[174:175], v[56:57], -v[140:141]
	v_mul_f64 v[198:199], v[174:175], v[58:59]
	v_mul_f64 v[168:169], v[148:149], s[4:5]
	;; [unrolled: 1-line block ×3, first 2 shown]
	v_mul_f64 v[174:175], v[192:193], -0.5
	v_fmac_f64_e32 v[216:217], v[132:133], v[96:97]
	v_fma_f64 v[132:133], v[138:139], v[92:93], -v[222:223]
	v_fma_f64 v[138:139], v[170:171], v[64:65], -v[236:237]
	v_fmac_f64_e32 v[168:169], 0.5, v[162:163]
	v_mul_f64 v[170:171], v[190:191], -0.5
	v_fmac_f64_e32 v[172:173], 0.5, v[148:149]
	v_fmac_f64_e32 v[174:175], s[2:3], v[190:191]
	v_fmac_f64_e32 v[228:229], v[144:145], v[108:109]
	v_add_f64 v[142:143], v[154:155], v[158:159]
	v_add_f64 v[146:147], v[156:157], v[168:169]
	v_fmac_f64_e32 v[170:171], s[4:5], v[192:193]
	v_add_f64 v[144:145], v[160:161], v[166:167]
	v_add_f64 v[148:149], v[164:165], v[172:173]
	;; [unrolled: 1-line block ×3, first 2 shown]
	v_add_f64 v[154:155], v[154:155], -v[158:159]
	v_add_f64 v[158:159], v[156:157], -v[168:169]
	;; [unrolled: 1-line block ×5, first 2 shown]
	v_add_f64 v[118:119], v[128:129], v[132:133]
	v_mul_f64 v[202:203], v[178:179], v[62:63]
	v_add_f64 v[150:151], v[116:117], v[170:171]
	v_add_f64 v[162:163], v[116:117], -v[170:171]
	v_add_f64 v[116:117], v[112:113], v[128:129]
	v_fmac_f64_e32 v[112:113], -0.5, v[118:119]
	v_add_f64 v[118:119], v[216:217], -v[224:225]
	v_add_f64 v[166:167], v[216:217], v[224:225]
	v_fma_f64 v[126:127], v[126:127], v[104:105], -v[210:211]
	v_mul_f64 v[140:141], v[180:181], v[62:63]
	v_fmac_f64_e32 v[202:203], v[180:181], v[60:61]
	v_fma_f64 v[180:181], s[4:5], v[118:119], v[112:113]
	v_fmac_f64_e32 v[112:113], s[2:3], v[118:119]
	v_add_f64 v[118:119], v[114:115], v[216:217]
	v_fmac_f64_e32 v[114:115], -0.5, v[166:167]
	v_add_f64 v[128:129], v[128:129], -v[132:133]
	v_add_f64 v[166:167], v[130:131], v[134:135]
	v_add_f64 v[116:117], v[116:117], v[132:133]
	v_fma_f64 v[132:133], s[2:3], v[128:129], v[114:115]
	v_fmac_f64_e32 v[114:115], s[4:5], v[128:129]
	v_add_f64 v[128:129], v[126:127], v[130:131]
	v_fmac_f64_e32 v[126:127], -0.5, v[166:167]
	v_add_f64 v[166:167], v[220:221], -v[228:229]
	v_mul_f64 v[210:211], v[182:183], v[70:71]
	v_fma_f64 v[172:173], s[4:5], v[166:167], v[126:127]
	v_fmac_f64_e32 v[126:127], s[2:3], v[166:167]
	v_add_f64 v[166:167], v[212:213], v[220:221]
	v_fmac_f64_e32 v[210:211], v[184:185], v[68:69]
	v_add_f64 v[184:185], v[166:167], v[228:229]
	v_add_f64 v[166:167], v[220:221], v[228:229]
	v_fmac_f64_e32 v[212:213], -0.5, v[166:167]
	v_add_f64 v[130:131], v[130:131], -v[134:135]
	v_add_f64 v[128:129], v[128:129], v[134:135]
	v_fma_f64 v[134:135], s[2:3], v[130:131], v[212:213]
	v_fmac_f64_e32 v[212:213], s[4:5], v[130:131]
	v_mul_f64 v[190:191], v[126:127], -0.5
	v_fmac_f64_e32 v[190:191], s[4:5], v[212:213]
	v_mul_f64 v[192:193], v[172:173], s[2:3]
	v_fma_f64 v[140:141], v[178:179], v[60:61], -v[140:141]
	v_mul_f64 v[130:131], v[134:135], s[4:5]
	v_add_f64 v[174:175], v[112:113], v[190:191]
	v_fmac_f64_e32 v[192:193], 0.5, v[134:135]
	v_mul_f64 v[134:135], v[212:213], -0.5
	v_add_f64 v[190:191], v[112:113], -v[190:191]
	v_add_f64 v[112:113], v[122:123], v[138:139]
	v_fmac_f64_e32 v[134:135], s[2:3], v[126:127]
	v_add_f64 v[126:127], v[112:113], v[140:141]
	v_add_f64 v[112:113], v[138:139], v[140:141]
	v_fmac_f64_e32 v[122:123], -0.5, v[112:113]
	v_add_f64 v[112:113], v[242:243], -v[202:203]
	v_add_f64 v[118:119], v[118:119], v[224:225]
	v_add_f64 v[166:167], v[116:117], v[128:129]
	v_fmac_f64_e32 v[130:131], 0.5, v[172:173]
	v_add_f64 v[178:179], v[116:117], -v[128:129]
	v_fma_f64 v[128:129], s[4:5], v[112:113], v[122:123]
	v_fmac_f64_e32 v[122:123], s[2:3], v[112:113]
	v_add_f64 v[112:113], v[124:125], v[242:243]
	v_add_f64 v[170:171], v[180:181], v[130:131]
	;; [unrolled: 1-line block ×4, first 2 shown]
	v_add_f64 v[182:183], v[180:181], -v[130:131]
	v_add_f64 v[180:181], v[118:119], -v[184:185]
	;; [unrolled: 1-line block ×3, first 2 shown]
	v_add_f64 v[132:133], v[112:113], v[202:203]
	v_add_f64 v[112:113], v[242:243], v[202:203]
	v_fmac_f64_e32 v[124:125], -0.5, v[112:113]
	v_add_f64 v[112:113], v[138:139], -v[140:141]
	v_fma_f64 v[130:131], s[2:3], v[112:113], v[124:125]
	v_fmac_f64_e32 v[124:125], s[4:5], v[112:113]
	v_add_f64 v[112:113], v[136:137], v[194:195]
	v_fmac_f64_e32 v[198:199], v[176:177], v[56:57]
	v_add_f64 v[176:177], v[114:115], v[134:135]
	v_add_f64 v[192:193], v[114:115], -v[134:135]
	v_add_f64 v[134:135], v[112:113], v[206:207]
	v_add_f64 v[112:113], v[194:195], v[206:207]
	v_fmac_f64_e32 v[136:137], -0.5, v[112:113]
	v_add_f64 v[112:113], v[198:199], -v[210:211]
	v_fma_f64 v[114:115], s[4:5], v[112:113], v[136:137]
	v_fmac_f64_e32 v[136:137], s[2:3], v[112:113]
	v_add_f64 v[112:113], v[120:121], v[198:199]
	v_add_f64 v[140:141], v[112:113], v[210:211]
	;; [unrolled: 1-line block ×3, first 2 shown]
	v_fmac_f64_e32 v[120:121], -0.5, v[112:113]
	v_add_f64 v[112:113], v[194:195], -v[206:207]
	v_fma_f64 v[118:119], s[2:3], v[112:113], v[120:121]
	v_fmac_f64_e32 v[120:121], s[4:5], v[112:113]
	v_mul_f64 v[138:139], v[118:119], s[4:5]
	v_mul_f64 v[194:195], v[136:137], -0.5
	v_mul_f64 v[196:197], v[114:115], s[2:3]
	v_mul_f64 v[198:199], v[120:121], -0.5
	v_fmac_f64_e32 v[138:139], 0.5, v[114:115]
	v_fmac_f64_e32 v[194:195], s[4:5], v[120:121]
	v_fmac_f64_e32 v[196:197], 0.5, v[118:119]
	v_fmac_f64_e32 v[198:199], s[2:3], v[136:137]
	v_add_f64 v[112:113], v[128:129], v[138:139]
	v_add_f64 v[116:117], v[122:123], v[194:195]
	;; [unrolled: 1-line block ×4, first 2 shown]
	v_add_f64 v[120:121], v[126:127], -v[134:135]
	v_add_f64 v[136:137], v[128:129], -v[138:139]
	v_add_f64 v[128:129], v[122:123], -v[194:195]
	v_add_f64 v[122:123], v[132:133], -v[140:141]
	v_add_f64 v[138:139], v[130:131], -v[196:197]
	v_add_f64 v[130:131], v[124:125], -v[198:199]
	v_lshl_add_u32 v242, v0, 4, v238
	ds_write_b128 v241, v[142:145]
	ds_write_b128 v241, v[146:149] offset:208
	ds_write_b128 v241, v[150:153] offset:416
	;; [unrolled: 1-line block ×5, first 2 shown]
	ds_write_b128 v242, v[166:169]
	ds_write_b128 v242, v[170:173] offset:208
	ds_write_b128 v242, v[174:177] offset:416
	;; [unrolled: 1-line block ×5, first 2 shown]
	s_and_saveexec_b64 s[2:3], vcc
	s_cbranch_execz .LBB0_5
; %bb.4:
	v_add_f64 v[142:143], v[132:133], v[140:141]
	v_add_f64 v[140:141], v[126:127], v[134:135]
	v_lshl_add_u32 v0, v188, 4, v238
	ds_write_b128 v0, v[140:143] offset:14976
	ds_write_b128 v0, v[112:115] offset:15184
	;; [unrolled: 1-line block ×6, first 2 shown]
.LBB0_5:
	s_or_b64 exec, exec, s[2:3]
	v_mov_b32_e32 v0, s13
	v_addc_co_u32_e64 v243, s[0:1], 0, v0, s[0:1]
	s_movk_i32 s0, 0xc0
	v_pk_mov_b32 v[124:125], s[14:15], s[14:15] op_sel:[0,1]
	v_mad_u64_u32 v[236:237], s[0:1], v232, s0, v[124:125]
	s_waitcnt lgkmcnt(0)
	s_barrier
	ds_read_b128 v[180:183], v233
	ds_read_b128 v[144:147], v233 offset:1248
	ds_read_b128 v[148:151], v233 offset:2496
	;; [unrolled: 1-line block ×12, first 2 shown]
	global_load_dwordx4 v[124:127], v[236:237], off offset:1088
	global_load_dwordx4 v[132:135], v[236:237], off offset:1072
	;; [unrolled: 1-line block ×4, first 2 shown]
	s_mov_b32 s18, 0x4267c47c
	s_mov_b32 s12, 0x42a4c3d2
	;; [unrolled: 1-line block ×34, first 2 shown]
	s_movk_i32 s0, 0x3f60
	s_waitcnt vmcnt(3) lgkmcnt(8)
	v_mul_f64 v[210:211], v[172:173], v[126:127]
	s_waitcnt vmcnt(2)
	v_mul_f64 v[222:223], v[152:153], v[134:135]
	s_waitcnt vmcnt(1)
	v_mul_f64 v[226:227], v[148:149], v[142:143]
	s_waitcnt vmcnt(0)
	v_mul_f64 v[200:201], v[146:147], v[158:159]
	v_fma_f64 v[228:229], v[144:145], v[156:157], -v[200:201]
	v_mul_f64 v[230:231], v[144:145], v[158:159]
	v_mul_f64 v[144:145], v[150:151], v[142:143]
	v_fma_f64 v[224:225], v[148:149], v[140:141], -v[144:145]
	v_mul_f64 v[144:145], v[154:155], v[134:135]
	v_fma_f64 v[220:221], v[152:153], v[132:133], -v[144:145]
	v_mul_f64 v[144:145], v[174:175], v[126:127]
	v_fmac_f64_e32 v[230:231], v[146:147], v[156:157]
	v_fmac_f64_e32 v[226:227], v[150:151], v[140:141]
	;; [unrolled: 1-line block ×3, first 2 shown]
	v_fma_f64 v[208:209], v[172:173], v[124:125], -v[144:145]
	v_fmac_f64_e32 v[210:211], v[174:175], v[124:125]
	global_load_dwordx4 v[144:147], v[236:237], off offset:1152
	global_load_dwordx4 v[148:151], v[236:237], off offset:1136
	global_load_dwordx4 v[152:155], v[236:237], off offset:1120
	global_load_dwordx4 v[172:175], v[236:237], off offset:1104
	s_waitcnt vmcnt(3) lgkmcnt(4)
	v_mul_f64 v[218:219], v[160:161], v[146:147]
	s_waitcnt vmcnt(2)
	v_mul_f64 v[206:207], v[164:165], v[150:151]
	s_waitcnt vmcnt(1)
	;; [unrolled: 2-line block ×3, first 2 shown]
	v_mul_f64 v[200:201], v[178:179], v[174:175]
	v_fma_f64 v[212:213], v[176:177], v[172:173], -v[200:201]
	v_mul_f64 v[214:215], v[176:177], v[174:175]
	v_mul_f64 v[176:177], v[170:171], v[154:155]
	v_fma_f64 v[200:201], v[168:169], v[152:153], -v[176:177]
	v_mul_f64 v[168:169], v[166:167], v[150:151]
	v_fma_f64 v[204:205], v[164:165], v[148:149], -v[168:169]
	v_mul_f64 v[164:165], v[162:163], v[146:147]
	v_fmac_f64_e32 v[214:215], v[178:179], v[172:173]
	v_fmac_f64_e32 v[202:203], v[170:171], v[152:153]
	;; [unrolled: 1-line block ×3, first 2 shown]
	v_fma_f64 v[216:217], v[160:161], v[144:145], -v[164:165]
	v_fmac_f64_e32 v[218:219], v[162:163], v[144:145]
	global_load_dwordx4 v[160:163], v[236:237], off offset:1216
	global_load_dwordx4 v[164:167], v[236:237], off offset:1200
	;; [unrolled: 1-line block ×4, first 2 shown]
	s_waitcnt vmcnt(3) lgkmcnt(0)
	v_mul_f64 v[244:245], v[184:185], v[162:163]
	v_fmac_f64_e32 v[244:245], v[186:187], v[160:161]
	v_add_f64 v[248:249], v[230:231], v[244:245]
	s_waitcnt vmcnt(0)
	v_mul_f64 v[236:237], v[198:199], v[178:179]
	v_fma_f64 v[236:237], v[196:197], v[176:177], -v[236:237]
	v_mul_f64 v[196:197], v[196:197], v[178:179]
	v_fmac_f64_e32 v[196:197], v[198:199], v[176:177]
	v_mul_f64 v[198:199], v[194:195], v[170:171]
	v_fma_f64 v[198:199], v[192:193], v[168:169], -v[198:199]
	v_mul_f64 v[192:193], v[192:193], v[170:171]
	v_fmac_f64_e32 v[192:193], v[194:195], v[168:169]
	;; [unrolled: 4-line block ×3, first 2 shown]
	v_mul_f64 v[190:191], v[186:187], v[162:163]
	v_fma_f64 v[190:191], v[184:185], v[160:161], -v[190:191]
	v_add_f64 v[184:185], v[180:181], v[228:229]
	v_add_f64 v[184:185], v[184:185], v[224:225]
	;; [unrolled: 1-line block ×23, first 2 shown]
	v_add_f64 v[190:191], v[228:229], -v[190:191]
	v_add_f64 v[228:229], v[230:231], -v[244:245]
	v_add_f64 v[186:187], v[186:187], v[188:189]
	v_mul_f64 v[230:231], v[228:229], s[18:19]
	v_mul_f64 v[254:255], v[228:229], s[12:13]
	;; [unrolled: 1-line block ×6, first 2 shown]
	v_add_f64 v[186:187], v[186:187], v[244:245]
	v_fma_f64 v[244:245], v[246:247], s[20:21], -v[230:231]
	v_mul_f64 v[250:251], v[190:191], s[18:19]
	v_fmac_f64_e32 v[230:231], s[20:21], v[246:247]
	v_fma_f64 v[234:235], v[246:247], s[14:15], -v[254:255]
	v_mul_f64 v[0:1], v[190:191], s[12:13]
	v_fmac_f64_e32 v[254:255], s[14:15], v[246:247]
	v_fma_f64 v[6:7], v[246:247], s[4:5], -v[4:5]
	v_mul_f64 v[8:9], v[190:191], s[2:3]
	v_fmac_f64_e32 v[4:5], s[4:5], v[246:247]
	v_fma_f64 v[14:15], v[246:247], s[22:23], -v[12:13]
	v_mul_f64 v[16:17], v[190:191], s[16:17]
	v_fmac_f64_e32 v[12:13], s[22:23], v[246:247]
	v_fma_f64 v[22:23], v[246:247], s[26:27], -v[20:21]
	v_mul_f64 v[24:25], v[190:191], s[24:25]
	v_fmac_f64_e32 v[20:21], s[26:27], v[246:247]
	v_fma_f64 v[28:29], v[246:247], s[34:35], -v[228:229]
	v_mul_f64 v[30:31], v[190:191], s[30:31]
	v_fmac_f64_e32 v[228:229], s[34:35], v[246:247]
	v_add_f64 v[244:245], v[180:181], v[244:245]
	v_fma_f64 v[252:253], s[20:21], v[248:249], v[250:251]
	v_add_f64 v[230:231], v[180:181], v[230:231]
	v_fma_f64 v[250:251], v[248:249], s[20:21], -v[250:251]
	v_add_f64 v[234:235], v[180:181], v[234:235]
	v_fma_f64 v[2:3], s[14:15], v[248:249], v[0:1]
	v_add_f64 v[254:255], v[180:181], v[254:255]
	v_fma_f64 v[0:1], v[248:249], s[14:15], -v[0:1]
	;; [unrolled: 4-line block ×6, first 2 shown]
	v_add_f64 v[228:229], v[226:227], v[188:189]
	v_add_f64 v[188:189], v[226:227], -v[188:189]
	v_add_f64 v[252:253], v[182:183], v[252:253]
	v_add_f64 v[250:251], v[182:183], v[250:251]
	;; [unrolled: 1-line block ×13, first 2 shown]
	v_add_f64 v[194:195], v[224:225], -v[194:195]
	v_mul_f64 v[224:225], v[188:189], s[12:13]
	v_fma_f64 v[226:227], v[182:183], s[14:15], -v[224:225]
	v_add_f64 v[226:227], v[226:227], v[244:245]
	v_mul_f64 v[244:245], v[194:195], s[12:13]
	v_fmac_f64_e32 v[224:225], s[14:15], v[182:183]
	v_fma_f64 v[246:247], s[14:15], v[228:229], v[244:245]
	v_add_f64 v[224:225], v[224:225], v[230:231]
	v_fma_f64 v[230:231], v[228:229], s[14:15], -v[244:245]
	v_mul_f64 v[244:245], v[188:189], s[16:17]
	v_fma_f64 v[248:249], v[182:183], s[22:23], -v[244:245]
	v_add_f64 v[234:235], v[248:249], v[234:235]
	v_mul_f64 v[248:249], v[194:195], s[16:17]
	v_add_f64 v[230:231], v[230:231], v[250:251]
	v_fma_f64 v[250:251], s[22:23], v[228:229], v[248:249]
	v_fma_f64 v[248:249], v[228:229], s[22:23], -v[248:249]
	v_add_f64 v[0:1], v[248:249], v[0:1]
	v_mul_f64 v[248:249], v[188:189], s[30:31]
	v_add_f64 v[2:3], v[250:251], v[2:3]
	v_fma_f64 v[250:251], v[182:183], s[34:35], -v[248:249]
	v_add_f64 v[6:7], v[250:251], v[6:7]
	v_mul_f64 v[250:251], v[194:195], s[30:31]
	v_fmac_f64_e32 v[248:249], s[34:35], v[182:183]
	v_add_f64 v[4:5], v[248:249], v[4:5]
	v_fma_f64 v[248:249], v[228:229], s[34:35], -v[250:251]
	v_add_f64 v[8:9], v[248:249], v[8:9]
	v_mul_f64 v[248:249], v[188:189], s[36:37]
	v_add_f64 v[246:247], v[246:247], v[252:253]
	v_fma_f64 v[252:253], s[34:35], v[228:229], v[250:251]
	v_fma_f64 v[250:251], v[182:183], s[26:27], -v[248:249]
	v_add_f64 v[14:15], v[250:251], v[14:15]
	v_mul_f64 v[250:251], v[194:195], s[36:37]
	v_fmac_f64_e32 v[248:249], s[26:27], v[182:183]
	v_add_f64 v[12:13], v[248:249], v[12:13]
	v_fma_f64 v[248:249], v[228:229], s[26:27], -v[250:251]
	v_add_f64 v[16:17], v[248:249], v[16:17]
	v_mul_f64 v[248:249], v[188:189], s[28:29]
	v_add_f64 v[10:11], v[252:253], v[10:11]
	v_fma_f64 v[252:253], s[26:27], v[228:229], v[250:251]
	v_fma_f64 v[250:251], v[182:183], s[4:5], -v[248:249]
	v_add_f64 v[22:23], v[250:251], v[22:23]
	v_mul_f64 v[250:251], v[194:195], s[28:29]
	v_fmac_f64_e32 v[248:249], s[4:5], v[182:183]
	v_add_f64 v[20:21], v[248:249], v[20:21]
	v_fma_f64 v[248:249], v[228:229], s[4:5], -v[250:251]
	v_mul_f64 v[188:189], v[188:189], s[40:41]
	v_add_f64 v[24:25], v[248:249], v[24:25]
	v_fma_f64 v[248:249], v[182:183], s[20:21], -v[188:189]
	v_mul_f64 v[194:195], v[194:195], s[40:41]
	v_fmac_f64_e32 v[188:189], s[20:21], v[182:183]
	v_fmac_f64_e32 v[244:245], s[22:23], v[182:183]
	v_add_f64 v[180:181], v[188:189], v[180:181]
	v_fma_f64 v[182:183], v[228:229], s[20:21], -v[194:195]
	v_add_f64 v[188:189], v[222:223], v[192:193]
	v_add_f64 v[192:193], v[222:223], -v[192:193]
	v_add_f64 v[28:29], v[248:249], v[28:29]
	v_fma_f64 v[248:249], s[20:21], v[228:229], v[194:195]
	v_add_f64 v[30:31], v[182:183], v[30:31]
	v_add_f64 v[182:183], v[220:221], v[198:199]
	v_add_f64 v[194:195], v[220:221], -v[198:199]
	v_mul_f64 v[198:199], v[192:193], s[2:3]
	v_fma_f64 v[220:221], v[182:183], s[4:5], -v[198:199]
	v_mul_f64 v[222:223], v[194:195], s[2:3]
	v_fmac_f64_e32 v[198:199], s[4:5], v[182:183]
	v_add_f64 v[220:221], v[220:221], v[226:227]
	v_fma_f64 v[226:227], s[4:5], v[188:189], v[222:223]
	v_add_f64 v[198:199], v[198:199], v[224:225]
	v_fma_f64 v[222:223], v[188:189], s[4:5], -v[222:223]
	v_mul_f64 v[224:225], v[192:193], s[30:31]
	v_add_f64 v[18:19], v[252:253], v[18:19]
	v_fma_f64 v[252:253], s[4:5], v[228:229], v[250:251]
	v_add_f64 v[222:223], v[222:223], v[230:231]
	v_fma_f64 v[228:229], v[182:183], s[34:35], -v[224:225]
	v_mul_f64 v[230:231], v[194:195], s[30:31]
	v_add_f64 v[228:229], v[228:229], v[234:235]
	v_fma_f64 v[234:235], s[34:35], v[188:189], v[230:231]
	v_fma_f64 v[230:231], v[188:189], s[34:35], -v[230:231]
	v_add_f64 v[0:1], v[230:231], v[0:1]
	v_mul_f64 v[230:231], v[192:193], s[38:39]
	v_add_f64 v[2:3], v[234:235], v[2:3]
	v_fma_f64 v[234:235], v[182:183], s[22:23], -v[230:231]
	v_add_f64 v[6:7], v[234:235], v[6:7]
	v_mul_f64 v[234:235], v[194:195], s[38:39]
	v_fmac_f64_e32 v[230:231], s[22:23], v[182:183]
	v_add_f64 v[4:5], v[230:231], v[4:5]
	v_fma_f64 v[230:231], v[188:189], s[22:23], -v[234:235]
	v_add_f64 v[244:245], v[244:245], v[254:255]
	v_fmac_f64_e32 v[224:225], s[34:35], v[182:183]
	v_add_f64 v[8:9], v[230:231], v[8:9]
	v_mul_f64 v[230:231], v[192:193], s[40:41]
	v_add_f64 v[224:225], v[224:225], v[244:245]
	v_fma_f64 v[244:245], s[22:23], v[188:189], v[234:235]
	v_fma_f64 v[234:235], v[182:183], s[20:21], -v[230:231]
	v_add_f64 v[14:15], v[234:235], v[14:15]
	v_mul_f64 v[234:235], v[194:195], s[40:41]
	v_fmac_f64_e32 v[230:231], s[20:21], v[182:183]
	v_add_f64 v[12:13], v[230:231], v[12:13]
	v_fma_f64 v[230:231], v[188:189], s[20:21], -v[234:235]
	v_add_f64 v[16:17], v[230:231], v[16:17]
	v_mul_f64 v[230:231], v[192:193], s[12:13]
	v_add_f64 v[10:11], v[244:245], v[10:11]
	v_fma_f64 v[244:245], s[20:21], v[188:189], v[234:235]
	v_fma_f64 v[234:235], v[182:183], s[14:15], -v[230:231]
	v_add_f64 v[22:23], v[234:235], v[22:23]
	v_mul_f64 v[234:235], v[194:195], s[12:13]
	v_fmac_f64_e32 v[230:231], s[14:15], v[182:183]
	v_add_f64 v[20:21], v[230:231], v[20:21]
	v_fma_f64 v[230:231], v[188:189], s[14:15], -v[234:235]
	v_mul_f64 v[192:193], v[192:193], s[24:25]
	v_add_f64 v[24:25], v[230:231], v[24:25]
	v_fma_f64 v[230:231], v[182:183], s[26:27], -v[192:193]
	v_mul_f64 v[194:195], v[194:195], s[24:25]
	v_add_f64 v[28:29], v[230:231], v[28:29]
	v_fma_f64 v[230:231], s[26:27], v[188:189], v[194:195]
	v_fmac_f64_e32 v[192:193], s[26:27], v[182:183]
	v_fma_f64 v[182:183], v[188:189], s[26:27], -v[194:195]
	v_add_f64 v[194:195], v[210:211], -v[196:197]
	v_add_f64 v[18:19], v[244:245], v[18:19]
	v_fma_f64 v[244:245], s[14:15], v[188:189], v[234:235]
	v_add_f64 v[180:181], v[192:193], v[180:181]
	v_add_f64 v[30:31], v[182:183], v[30:31]
	;; [unrolled: 1-line block ×4, first 2 shown]
	v_add_f64 v[192:193], v[208:209], -v[236:237]
	v_mul_f64 v[196:197], v[194:195], s[16:17]
	v_fma_f64 v[208:209], v[182:183], s[22:23], -v[196:197]
	v_mul_f64 v[210:211], v[192:193], s[16:17]
	v_fmac_f64_e32 v[196:197], s[22:23], v[182:183]
	v_add_f64 v[226:227], v[226:227], v[246:247]
	v_add_f64 v[208:209], v[208:209], v[220:221]
	v_fma_f64 v[220:221], s[22:23], v[188:189], v[210:211]
	v_add_f64 v[196:197], v[196:197], v[198:199]
	v_fma_f64 v[198:199], v[188:189], s[22:23], -v[210:211]
	v_mul_f64 v[210:211], v[194:195], s[36:37]
	v_add_f64 v[220:221], v[220:221], v[226:227]
	v_add_f64 v[198:199], v[198:199], v[222:223]
	v_fma_f64 v[222:223], v[182:183], s[26:27], -v[210:211]
	v_mul_f64 v[226:227], v[192:193], s[36:37]
	v_fmac_f64_e32 v[210:211], s[26:27], v[182:183]
	v_add_f64 v[210:211], v[210:211], v[224:225]
	v_fma_f64 v[224:225], v[188:189], s[26:27], -v[226:227]
	v_add_f64 v[0:1], v[224:225], v[0:1]
	v_mul_f64 v[224:225], v[194:195], s[40:41]
	v_add_f64 v[222:223], v[222:223], v[228:229]
	v_fma_f64 v[228:229], s[26:27], v[188:189], v[226:227]
	v_fma_f64 v[226:227], v[182:183], s[20:21], -v[224:225]
	v_add_f64 v[6:7], v[226:227], v[6:7]
	v_mul_f64 v[226:227], v[192:193], s[40:41]
	v_fmac_f64_e32 v[224:225], s[20:21], v[182:183]
	v_add_f64 v[4:5], v[224:225], v[4:5]
	v_fma_f64 v[224:225], v[188:189], s[20:21], -v[226:227]
	v_add_f64 v[8:9], v[224:225], v[8:9]
	v_mul_f64 v[224:225], v[194:195], s[2:3]
	v_add_f64 v[2:3], v[228:229], v[2:3]
	v_fma_f64 v[228:229], s[20:21], v[188:189], v[226:227]
	v_fma_f64 v[226:227], v[182:183], s[4:5], -v[224:225]
	v_add_f64 v[14:15], v[226:227], v[14:15]
	;; [unrolled: 10-line block ×3, first 2 shown]
	v_mul_f64 v[226:227], v[192:193], s[44:45]
	v_fmac_f64_e32 v[224:225], s[34:35], v[182:183]
	v_add_f64 v[20:21], v[224:225], v[20:21]
	v_fma_f64 v[224:225], v[188:189], s[34:35], -v[226:227]
	v_mul_f64 v[194:195], v[194:195], s[42:43]
	v_add_f64 v[24:25], v[224:225], v[24:25]
	v_fma_f64 v[224:225], v[182:183], s[14:15], -v[194:195]
	v_mul_f64 v[192:193], v[192:193], s[42:43]
	v_fmac_f64_e32 v[194:195], s[14:15], v[182:183]
	v_add_f64 v[180:181], v[194:195], v[180:181]
	v_fma_f64 v[182:183], v[188:189], s[14:15], -v[192:193]
	v_add_f64 v[194:195], v[214:215], -v[218:219]
	v_add_f64 v[28:29], v[224:225], v[28:29]
	v_fma_f64 v[224:225], s[14:15], v[188:189], v[192:193]
	v_add_f64 v[30:31], v[182:183], v[30:31]
	v_add_f64 v[182:183], v[212:213], v[216:217]
	v_add_f64 v[192:193], v[212:213], -v[216:217]
	v_mul_f64 v[212:213], v[194:195], s[24:25]
	v_add_f64 v[18:19], v[228:229], v[18:19]
	v_fma_f64 v[228:229], s[34:35], v[188:189], v[226:227]
	v_add_f64 v[188:189], v[214:215], v[218:219]
	v_fma_f64 v[214:215], v[182:183], s[26:27], -v[212:213]
	v_add_f64 v[208:209], v[214:215], v[208:209]
	v_mul_f64 v[214:215], v[192:193], s[24:25]
	v_fmac_f64_e32 v[212:213], s[26:27], v[182:183]
	v_add_f64 v[196:197], v[212:213], v[196:197]
	v_fma_f64 v[212:213], v[188:189], s[26:27], -v[214:215]
	v_add_f64 v[198:199], v[212:213], v[198:199]
	v_mul_f64 v[212:213], v[194:195], s[28:29]
	v_fma_f64 v[216:217], s[26:27], v[188:189], v[214:215]
	v_fma_f64 v[214:215], v[182:183], s[4:5], -v[212:213]
	v_mul_f64 v[218:219], v[192:193], s[28:29]
	v_fmac_f64_e32 v[212:213], s[4:5], v[182:183]
	v_add_f64 v[210:211], v[212:213], v[210:211]
	v_fma_f64 v[212:213], v[188:189], s[4:5], -v[218:219]
	v_add_f64 v[0:1], v[212:213], v[0:1]
	v_mul_f64 v[212:213], v[194:195], s[12:13]
	v_add_f64 v[216:217], v[216:217], v[220:221]
	v_fma_f64 v[220:221], s[4:5], v[188:189], v[218:219]
	v_fma_f64 v[218:219], v[182:183], s[14:15], -v[212:213]
	v_add_f64 v[6:7], v[218:219], v[6:7]
	v_mul_f64 v[218:219], v[192:193], s[12:13]
	v_fmac_f64_e32 v[212:213], s[14:15], v[182:183]
	v_add_f64 v[4:5], v[212:213], v[4:5]
	v_fma_f64 v[212:213], v[188:189], s[14:15], -v[218:219]
	v_add_f64 v[8:9], v[212:213], v[8:9]
	v_mul_f64 v[212:213], v[194:195], s[44:45]
	v_add_f64 v[2:3], v[220:221], v[2:3]
	v_fma_f64 v[220:221], s[14:15], v[188:189], v[218:219]
	v_fma_f64 v[218:219], v[182:183], s[34:35], -v[212:213]
	v_add_f64 v[14:15], v[218:219], v[14:15]
	;; [unrolled: 10-line block ×3, first 2 shown]
	v_mul_f64 v[218:219], v[192:193], s[40:41]
	v_fmac_f64_e32 v[212:213], s[20:21], v[182:183]
	v_add_f64 v[190:191], v[248:249], v[190:191]
	v_add_f64 v[20:21], v[212:213], v[20:21]
	v_fma_f64 v[212:213], v[188:189], s[20:21], -v[218:219]
	v_mul_f64 v[194:195], v[194:195], s[16:17]
	v_add_f64 v[190:191], v[230:231], v[190:191]
	v_add_f64 v[24:25], v[212:213], v[24:25]
	v_fma_f64 v[212:213], v[182:183], s[22:23], -v[194:195]
	v_mul_f64 v[192:193], v[192:193], s[16:17]
	v_add_f64 v[190:191], v[224:225], v[190:191]
	v_add_f64 v[28:29], v[212:213], v[28:29]
	v_fma_f64 v[212:213], s[22:23], v[188:189], v[192:193]
	v_add_f64 v[236:237], v[200:201], -v[204:205]
	v_add_f64 v[226:227], v[212:213], v[190:191]
	v_add_f64 v[234:235], v[202:203], v[206:207]
	v_mul_f64 v[190:191], v[236:237], s[30:31]
	v_add_f64 v[26:27], v[252:253], v[26:27]
	v_fmac_f64_e32 v[194:195], s[22:23], v[182:183]
	v_fma_f64 v[182:183], s[34:35], v[234:235], v[190:191]
	v_fma_f64 v[190:191], v[234:235], s[34:35], -v[190:191]
	v_add_f64 v[26:27], v[244:245], v[26:27]
	v_add_f64 v[190:191], v[190:191], v[198:199]
	v_mul_f64 v[198:199], v[236:237], s[40:41]
	v_add_f64 v[26:27], v[228:229], v[26:27]
	v_add_f64 v[228:229], v[194:195], v[180:181]
	v_fma_f64 v[194:195], s[20:21], v[234:235], v[198:199]
	v_add_f64 v[224:225], v[202:203], -v[206:207]
	v_add_f64 v[194:195], v[194:195], v[2:3]
	v_fma_f64 v[2:3], v[234:235], s[20:21], -v[198:199]
	v_add_f64 v[230:231], v[200:201], v[204:205]
	v_add_f64 v[198:199], v[2:3], v[0:1]
	v_mul_f64 v[0:1], v[224:225], s[24:25]
	v_fma_f64 v[2:3], v[230:231], s[26:27], -v[0:1]
	v_add_f64 v[200:201], v[2:3], v[6:7]
	v_mul_f64 v[2:3], v[236:237], s[24:25]
	v_fmac_f64_e32 v[0:1], s[26:27], v[230:231]
	v_add_f64 v[204:205], v[0:1], v[4:5]
	v_fma_f64 v[0:1], v[234:235], s[26:27], -v[2:3]
	v_add_f64 v[18:19], v[220:221], v[18:19]
	v_fma_f64 v[220:221], s[20:21], v[188:189], v[218:219]
	v_fma_f64 v[180:181], v[188:189], s[22:23], -v[192:193]
	v_mul_f64 v[188:189], v[224:225], s[30:31]
	v_add_f64 v[206:207], v[0:1], v[8:9]
	v_mul_f64 v[0:1], v[224:225], s[42:43]
	v_add_f64 v[30:31], v[180:181], v[30:31]
	v_fma_f64 v[180:181], v[230:231], s[34:35], -v[188:189]
	v_fmac_f64_e32 v[188:189], s[34:35], v[230:231]
	v_fma_f64 v[6:7], s[26:27], v[234:235], v[2:3]
	v_fma_f64 v[2:3], v[230:231], s[14:15], -v[0:1]
	v_add_f64 v[180:181], v[180:181], v[208:209]
	v_add_f64 v[188:189], v[188:189], v[196:197]
	v_mul_f64 v[196:197], v[224:225], s[40:41]
	v_add_f64 v[208:209], v[2:3], v[14:15]
	v_mul_f64 v[2:3], v[236:237], s[42:43]
	v_fmac_f64_e32 v[0:1], s[14:15], v[230:231]
	v_add_f64 v[214:215], v[214:215], v[222:223]
	v_fma_f64 v[192:193], v[230:231], s[20:21], -v[196:197]
	v_add_f64 v[212:213], v[0:1], v[12:13]
	v_fma_f64 v[0:1], v[234:235], s[14:15], -v[2:3]
	v_add_f64 v[192:193], v[192:193], v[214:215]
	v_add_f64 v[214:215], v[0:1], v[16:17]
	v_mul_f64 v[0:1], v[224:225], s[16:17]
	v_fma_f64 v[4:5], s[14:15], v[234:235], v[2:3]
	v_fma_f64 v[2:3], v[230:231], s[22:23], -v[0:1]
	v_add_f64 v[182:183], v[182:183], v[216:217]
	v_add_f64 v[216:217], v[2:3], v[22:23]
	v_mul_f64 v[2:3], v[236:237], s[16:17]
	v_fmac_f64_e32 v[0:1], s[22:23], v[230:231]
	v_add_f64 v[26:27], v[220:221], v[26:27]
	v_add_f64 v[220:221], v[0:1], v[20:21]
	v_fma_f64 v[0:1], v[234:235], s[22:23], -v[2:3]
	v_fmac_f64_e32 v[196:197], s[20:21], v[230:231]
	v_add_f64 v[222:223], v[0:1], v[24:25]
	v_mul_f64 v[0:1], v[224:225], s[28:29]
	v_add_f64 v[196:197], v[196:197], v[210:211]
	v_add_f64 v[210:211], v[4:5], v[18:19]
	v_fma_f64 v[4:5], s[22:23], v[234:235], v[2:3]
	v_fma_f64 v[2:3], v[230:231], s[4:5], -v[0:1]
	v_add_f64 v[224:225], v[2:3], v[28:29]
	v_mul_f64 v[2:3], v[236:237], s[28:29]
	v_fmac_f64_e32 v[0:1], s[4:5], v[230:231]
	v_add_f64 v[228:229], v[0:1], v[228:229]
	v_fma_f64 v[0:1], v[234:235], s[4:5], -v[2:3]
	v_add_f64 v[230:231], v[0:1], v[30:31]
	v_add_co_u32_e64 v0, s[0:1], s0, v239
	v_addc_co_u32_e64 v1, s[0:1], 0, v243, s[0:1]
	s_movk_i32 s0, 0x3000
	v_add_f64 v[218:219], v[4:5], v[26:27]
	v_fma_f64 v[4:5], s[4:5], v[234:235], v[2:3]
	v_add_co_u32_e64 v2, s[0:1], s0, v239
	v_addc_co_u32_e64 v3, s[0:1], 0, v243, s[0:1]
	v_add_f64 v[202:203], v[6:7], v[10:11]
	v_add_f64 v[226:227], v[4:5], v[226:227]
	ds_write_b128 v233, v[184:187]
	ds_write_b128 v233, v[180:183] offset:1248
	ds_write_b128 v233, v[192:195] offset:2496
	;; [unrolled: 1-line block ×12, first 2 shown]
	s_waitcnt lgkmcnt(0)
	s_barrier
	global_load_dwordx4 v[184:187], v[2:3], off offset:3936
	ds_read_b128 v[180:183], v233
	s_movk_i32 s0, 0x5000
	s_waitcnt vmcnt(0) lgkmcnt(0)
	v_mul_f64 v[2:3], v[182:183], v[186:187]
	v_mul_f64 v[190:191], v[180:181], v[186:187]
	v_fma_f64 v[188:189], v[180:181], v[184:185], -v[2:3]
	v_fmac_f64_e32 v[190:191], v[182:183], v[184:185]
	global_load_dwordx4 v[184:187], v[0:1], off offset:1248
	ds_read_b128 v[180:183], v233 offset:1248
	ds_write_b128 v233, v[188:191]
	s_waitcnt vmcnt(0) lgkmcnt(1)
	v_mul_f64 v[2:3], v[182:183], v[186:187]
	v_mul_f64 v[190:191], v[180:181], v[186:187]
	v_fma_f64 v[188:189], v[180:181], v[184:185], -v[2:3]
	v_fmac_f64_e32 v[190:191], v[182:183], v[184:185]
	global_load_dwordx4 v[184:187], v[0:1], off offset:2496
	ds_read_b128 v[180:183], v233 offset:2496
	ds_write_b128 v233, v[188:191] offset:1248
	s_waitcnt vmcnt(0) lgkmcnt(1)
	v_mul_f64 v[2:3], v[182:183], v[186:187]
	v_mul_f64 v[190:191], v[180:181], v[186:187]
	v_fma_f64 v[188:189], v[180:181], v[184:185], -v[2:3]
	v_fmac_f64_e32 v[190:191], v[182:183], v[184:185]
	global_load_dwordx4 v[184:187], v[0:1], off offset:3744
	ds_read_b128 v[180:183], v233 offset:3744
	ds_write_b128 v233, v[188:191] offset:2496
	s_waitcnt vmcnt(0) lgkmcnt(1)
	v_mul_f64 v[0:1], v[182:183], v[186:187]
	v_fma_f64 v[188:189], v[180:181], v[184:185], -v[0:1]
	v_add_co_u32_e64 v0, s[0:1], s0, v239
	v_mul_f64 v[190:191], v[180:181], v[186:187]
	v_addc_co_u32_e64 v1, s[0:1], 0, v243, s[0:1]
	v_fmac_f64_e32 v[190:191], v[182:183], v[184:185]
	global_load_dwordx4 v[184:187], v[0:1], off offset:736
	ds_read_b128 v[180:183], v233 offset:4992
	ds_write_b128 v233, v[188:191] offset:3744
	s_movk_i32 s0, 0x6000
	s_waitcnt vmcnt(0) lgkmcnt(1)
	v_mul_f64 v[2:3], v[182:183], v[186:187]
	v_mul_f64 v[190:191], v[180:181], v[186:187]
	v_fma_f64 v[188:189], v[180:181], v[184:185], -v[2:3]
	v_fmac_f64_e32 v[190:191], v[182:183], v[184:185]
	global_load_dwordx4 v[184:187], v[0:1], off offset:1984
	ds_read_b128 v[180:183], v233 offset:6240
	ds_write_b128 v233, v[188:191] offset:4992
	s_waitcnt vmcnt(0) lgkmcnt(1)
	v_mul_f64 v[2:3], v[182:183], v[186:187]
	v_mul_f64 v[190:191], v[180:181], v[186:187]
	v_fma_f64 v[188:189], v[180:181], v[184:185], -v[2:3]
	v_fmac_f64_e32 v[190:191], v[182:183], v[184:185]
	global_load_dwordx4 v[184:187], v[0:1], off offset:3232
	ds_read_b128 v[180:183], v233 offset:7488
	ds_write_b128 v233, v[188:191] offset:6240
	s_waitcnt vmcnt(0) lgkmcnt(1)
	v_mul_f64 v[0:1], v[182:183], v[186:187]
	v_fma_f64 v[188:189], v[180:181], v[184:185], -v[0:1]
	v_add_co_u32_e64 v0, s[0:1], s0, v239
	v_mul_f64 v[190:191], v[180:181], v[186:187]
	v_addc_co_u32_e64 v1, s[0:1], 0, v243, s[0:1]
	v_fmac_f64_e32 v[190:191], v[182:183], v[184:185]
	global_load_dwordx4 v[184:187], v[0:1], off offset:384
	ds_read_b128 v[180:183], v233 offset:8736
	ds_write_b128 v233, v[188:191] offset:7488
	s_movk_i32 s0, 0x7000
	s_waitcnt vmcnt(0) lgkmcnt(1)
	v_mul_f64 v[2:3], v[182:183], v[186:187]
	v_mul_f64 v[190:191], v[180:181], v[186:187]
	v_fma_f64 v[188:189], v[180:181], v[184:185], -v[2:3]
	v_fmac_f64_e32 v[190:191], v[182:183], v[184:185]
	global_load_dwordx4 v[184:187], v[0:1], off offset:1632
	ds_read_b128 v[180:183], v233 offset:9984
	ds_write_b128 v233, v[188:191] offset:8736
	s_waitcnt vmcnt(0) lgkmcnt(1)
	v_mul_f64 v[2:3], v[182:183], v[186:187]
	v_mul_f64 v[190:191], v[180:181], v[186:187]
	v_fma_f64 v[188:189], v[180:181], v[184:185], -v[2:3]
	v_fmac_f64_e32 v[190:191], v[182:183], v[184:185]
	global_load_dwordx4 v[184:187], v[0:1], off offset:2880
	ds_read_b128 v[180:183], v233 offset:11232
	ds_write_b128 v233, v[188:191] offset:9984
	s_waitcnt vmcnt(0) lgkmcnt(1)
	v_mul_f64 v[0:1], v[182:183], v[186:187]
	v_fma_f64 v[188:189], v[180:181], v[184:185], -v[0:1]
	v_add_co_u32_e64 v0, s[0:1], s0, v239
	v_mul_f64 v[190:191], v[180:181], v[186:187]
	v_addc_co_u32_e64 v1, s[0:1], 0, v243, s[0:1]
	v_fmac_f64_e32 v[190:191], v[182:183], v[184:185]
	global_load_dwordx4 v[184:187], v[0:1], off offset:32
	ds_read_b128 v[180:183], v233 offset:12480
	ds_write_b128 v233, v[188:191] offset:11232
	s_waitcnt vmcnt(0) lgkmcnt(1)
	v_mul_f64 v[2:3], v[182:183], v[186:187]
	v_mul_f64 v[190:191], v[180:181], v[186:187]
	v_fma_f64 v[188:189], v[180:181], v[184:185], -v[2:3]
	v_fmac_f64_e32 v[190:191], v[182:183], v[184:185]
	global_load_dwordx4 v[184:187], v[0:1], off offset:1280
	ds_read_b128 v[180:183], v233 offset:13728
	ds_write_b128 v233, v[188:191] offset:12480
	s_waitcnt vmcnt(0) lgkmcnt(1)
	v_mul_f64 v[2:3], v[182:183], v[186:187]
	v_mul_f64 v[190:191], v[180:181], v[186:187]
	v_fma_f64 v[188:189], v[180:181], v[184:185], -v[2:3]
	;; [unrolled: 8-line block ×3, first 2 shown]
	v_fmac_f64_e32 v[190:191], v[182:183], v[184:185]
	ds_write_b128 v233, v[188:191] offset:14976
	s_waitcnt lgkmcnt(0)
	s_barrier
	ds_read_b128 v[212:215], v233
	ds_read_b128 v[216:219], v233 offset:1248
	ds_read_b128 v[220:223], v233 offset:2496
	;; [unrolled: 1-line block ×12, first 2 shown]
	s_waitcnt lgkmcnt(11)
	v_add_f64 v[2:3], v[214:215], v[218:219]
	s_waitcnt lgkmcnt(10)
	v_add_f64 v[2:3], v[2:3], v[222:223]
	v_add_f64 v[0:1], v[212:213], v[216:217]
	s_waitcnt lgkmcnt(9)
	v_add_f64 v[2:3], v[2:3], v[210:211]
	;; [unrolled: 3-line block ×11, first 2 shown]
	v_add_f64 v[2:3], v[218:219], v[246:247]
	v_add_f64 v[0:1], v[0:1], v[228:229]
	v_add_f64 v[4:5], v[216:217], -v[244:245]
	v_add_f64 v[6:7], v[218:219], -v[246:247]
	v_mul_f64 v[12:13], v[2:3], s[20:21]
	v_mul_f64 v[20:21], v[2:3], s[14:15]
	;; [unrolled: 1-line block ×6, first 2 shown]
	v_add_f64 v[184:185], v[0:1], v[244:245]
	v_add_f64 v[0:1], v[216:217], v[244:245]
	v_mul_f64 v[8:9], v[6:7], s[18:19]
	v_fma_f64 v[14:15], s[40:41], v[4:5], v[12:13]
	v_fmac_f64_e32 v[12:13], s[18:19], v[4:5]
	v_mul_f64 v[16:17], v[6:7], s[12:13]
	v_fma_f64 v[22:23], s[42:43], v[4:5], v[20:21]
	v_fmac_f64_e32 v[20:21], s[12:13], v[4:5]
	;; [unrolled: 3-line block ×6, first 2 shown]
	v_fma_f64 v[10:11], s[20:21], v[0:1], v[8:9]
	v_add_f64 v[14:15], v[214:215], v[14:15]
	v_fma_f64 v[8:9], v[0:1], s[20:21], -v[8:9]
	v_add_f64 v[12:13], v[214:215], v[12:13]
	v_fma_f64 v[18:19], s[14:15], v[0:1], v[16:17]
	v_add_f64 v[22:23], v[214:215], v[22:23]
	v_fma_f64 v[16:17], v[0:1], s[14:15], -v[16:17]
	v_add_f64 v[20:21], v[214:215], v[20:21]
	;; [unrolled: 4-line block ×6, first 2 shown]
	v_add_f64 v[214:215], v[222:223], -v[230:231]
	v_add_f64 v[10:11], v[212:213], v[10:11]
	v_add_f64 v[8:9], v[212:213], v[8:9]
	;; [unrolled: 1-line block ×13, first 2 shown]
	v_add_f64 v[212:213], v[220:221], -v[228:229]
	v_mul_f64 v[220:221], v[214:215], s[12:13]
	v_add_f64 v[6:7], v[222:223], v[230:231]
	v_fma_f64 v[222:223], s[14:15], v[4:5], v[220:221]
	v_add_f64 v[10:11], v[222:223], v[10:11]
	v_mul_f64 v[222:223], v[6:7], s[14:15]
	v_fma_f64 v[220:221], v[4:5], s[14:15], -v[220:221]
	v_fma_f64 v[228:229], s[42:43], v[212:213], v[222:223]
	v_add_f64 v[8:9], v[220:221], v[8:9]
	v_fmac_f64_e32 v[222:223], s[12:13], v[212:213]
	v_mul_f64 v[220:221], v[214:215], s[16:17]
	v_add_f64 v[12:13], v[222:223], v[12:13]
	v_fma_f64 v[222:223], s[22:23], v[4:5], v[220:221]
	v_add_f64 v[18:19], v[222:223], v[18:19]
	v_mul_f64 v[222:223], v[6:7], s[22:23]
	v_fma_f64 v[220:221], v[4:5], s[22:23], -v[220:221]
	v_add_f64 v[14:15], v[228:229], v[14:15]
	v_fma_f64 v[228:229], s[38:39], v[212:213], v[222:223]
	v_add_f64 v[16:17], v[220:221], v[16:17]
	v_fmac_f64_e32 v[222:223], s[16:17], v[212:213]
	v_mul_f64 v[220:221], v[214:215], s[30:31]
	v_add_f64 v[20:21], v[222:223], v[20:21]
	v_fma_f64 v[222:223], s[34:35], v[4:5], v[220:221]
	v_add_f64 v[26:27], v[222:223], v[26:27]
	v_mul_f64 v[222:223], v[6:7], s[34:35]
	v_fma_f64 v[220:221], v[4:5], s[34:35], -v[220:221]
	v_add_f64 v[22:23], v[228:229], v[22:23]
	v_fma_f64 v[228:229], s[44:45], v[212:213], v[222:223]
	v_add_f64 v[24:25], v[220:221], v[24:25]
	v_fmac_f64_e32 v[222:223], s[30:31], v[212:213]
	v_mul_f64 v[220:221], v[214:215], s[36:37]
	v_add_f64 v[28:29], v[222:223], v[28:29]
	v_fma_f64 v[222:223], s[26:27], v[4:5], v[220:221]
	v_add_f64 v[218:219], v[222:223], v[218:219]
	v_mul_f64 v[222:223], v[6:7], s[26:27]
	v_add_f64 v[30:31], v[228:229], v[30:31]
	v_fma_f64 v[228:229], s[24:25], v[212:213], v[222:223]
	v_fma_f64 v[220:221], v[4:5], s[26:27], -v[220:221]
	v_fmac_f64_e32 v[222:223], s[36:37], v[212:213]
	v_add_f64 v[216:217], v[220:221], v[216:217]
	v_add_f64 v[220:221], v[222:223], v[234:235]
	v_mul_f64 v[222:223], v[214:215], s[28:29]
	v_fma_f64 v[230:231], s[4:5], v[4:5], v[222:223]
	v_mul_f64 v[234:235], v[6:7], s[4:5]
	v_mul_f64 v[6:7], v[6:7], s[20:21]
	v_add_f64 v[230:231], v[230:231], v[246:247]
	v_fma_f64 v[222:223], v[4:5], s[4:5], -v[222:223]
	v_mul_f64 v[214:215], v[214:215], s[40:41]
	v_fma_f64 v[246:247], s[18:19], v[212:213], v[6:7]
	v_fmac_f64_e32 v[6:7], s[40:41], v[212:213]
	v_add_f64 v[222:223], v[222:223], v[244:245]
	v_fma_f64 v[244:245], s[20:21], v[4:5], v[214:215]
	v_fma_f64 v[4:5], v[4:5], s[20:21], -v[214:215]
	v_add_f64 v[2:3], v[6:7], v[2:3]
	v_add_f64 v[6:7], v[210:211], v[226:227]
	v_add_f64 v[210:211], v[210:211], -v[226:227]
	v_add_f64 v[228:229], v[228:229], v[236:237]
	v_fma_f64 v[236:237], s[2:3], v[212:213], v[234:235]
	v_fmac_f64_e32 v[234:235], s[28:29], v[212:213]
	v_add_f64 v[0:1], v[4:5], v[0:1]
	v_add_f64 v[4:5], v[208:209], v[224:225]
	v_mul_f64 v[212:213], v[210:211], s[2:3]
	v_fma_f64 v[214:215], s[4:5], v[4:5], v[212:213]
	v_add_f64 v[208:209], v[208:209], -v[224:225]
	v_add_f64 v[10:11], v[214:215], v[10:11]
	v_mul_f64 v[214:215], v[6:7], s[4:5]
	v_fma_f64 v[212:213], v[4:5], s[4:5], -v[212:213]
	v_fma_f64 v[224:225], s[28:29], v[208:209], v[214:215]
	v_add_f64 v[8:9], v[212:213], v[8:9]
	v_fmac_f64_e32 v[214:215], s[2:3], v[208:209]
	v_mul_f64 v[212:213], v[210:211], s[30:31]
	v_add_f64 v[12:13], v[214:215], v[12:13]
	v_fma_f64 v[214:215], s[34:35], v[4:5], v[212:213]
	v_add_f64 v[18:19], v[214:215], v[18:19]
	v_mul_f64 v[214:215], v[6:7], s[34:35]
	v_fma_f64 v[212:213], v[4:5], s[34:35], -v[212:213]
	v_add_f64 v[14:15], v[224:225], v[14:15]
	v_fma_f64 v[224:225], s[44:45], v[208:209], v[214:215]
	v_add_f64 v[16:17], v[212:213], v[16:17]
	v_fmac_f64_e32 v[214:215], s[30:31], v[208:209]
	v_mul_f64 v[212:213], v[210:211], s[38:39]
	v_add_f64 v[20:21], v[214:215], v[20:21]
	v_fma_f64 v[214:215], s[22:23], v[4:5], v[212:213]
	v_add_f64 v[26:27], v[214:215], v[26:27]
	v_mul_f64 v[214:215], v[6:7], s[22:23]
	v_fma_f64 v[212:213], v[4:5], s[22:23], -v[212:213]
	v_add_f64 v[22:23], v[224:225], v[22:23]
	v_fma_f64 v[224:225], s[16:17], v[208:209], v[214:215]
	v_add_f64 v[24:25], v[212:213], v[24:25]
	v_fmac_f64_e32 v[214:215], s[38:39], v[208:209]
	v_mul_f64 v[212:213], v[210:211], s[40:41]
	v_add_f64 v[28:29], v[214:215], v[28:29]
	v_fma_f64 v[214:215], s[20:21], v[4:5], v[212:213]
	v_add_f64 v[214:215], v[214:215], v[218:219]
	v_mul_f64 v[218:219], v[6:7], s[20:21]
	v_add_f64 v[30:31], v[224:225], v[30:31]
	v_fma_f64 v[224:225], s[18:19], v[208:209], v[218:219]
	v_fma_f64 v[212:213], v[4:5], s[20:21], -v[212:213]
	v_fmac_f64_e32 v[218:219], s[40:41], v[208:209]
	v_add_f64 v[212:213], v[212:213], v[216:217]
	v_add_f64 v[216:217], v[218:219], v[220:221]
	v_mul_f64 v[218:219], v[210:211], s[12:13]
	v_fma_f64 v[220:221], s[14:15], v[4:5], v[218:219]
	v_mul_f64 v[226:227], v[6:7], s[14:15]
	v_mul_f64 v[6:7], v[6:7], s[26:27]
	v_add_f64 v[234:235], v[234:235], v[248:249]
	v_add_f64 v[224:225], v[224:225], v[228:229]
	;; [unrolled: 1-line block ×3, first 2 shown]
	v_fma_f64 v[228:229], s[42:43], v[208:209], v[226:227]
	v_fma_f64 v[218:219], v[4:5], s[14:15], -v[218:219]
	v_fmac_f64_e32 v[226:227], s[12:13], v[208:209]
	v_mul_f64 v[210:211], v[210:211], s[24:25]
	v_fma_f64 v[230:231], s[36:37], v[208:209], v[6:7]
	v_fmac_f64_e32 v[6:7], s[24:25], v[208:209]
	v_add_f64 v[218:219], v[218:219], v[222:223]
	v_add_f64 v[222:223], v[226:227], v[234:235]
	v_fma_f64 v[226:227], s[26:27], v[4:5], v[210:211]
	v_fma_f64 v[4:5], v[4:5], s[26:27], -v[210:211]
	v_add_f64 v[2:3], v[6:7], v[2:3]
	v_add_f64 v[6:7], v[202:203], v[206:207]
	v_add_f64 v[202:203], v[202:203], -v[206:207]
	v_add_f64 v[0:1], v[4:5], v[0:1]
	v_add_f64 v[4:5], v[200:201], v[204:205]
	v_add_f64 v[200:201], v[200:201], -v[204:205]
	v_mul_f64 v[204:205], v[202:203], s[16:17]
	v_fma_f64 v[206:207], s[22:23], v[4:5], v[204:205]
	v_add_f64 v[10:11], v[206:207], v[10:11]
	v_mul_f64 v[206:207], v[6:7], s[22:23]
	v_fma_f64 v[204:205], v[4:5], s[22:23], -v[204:205]
	v_fma_f64 v[208:209], s[38:39], v[200:201], v[206:207]
	v_add_f64 v[8:9], v[204:205], v[8:9]
	v_fmac_f64_e32 v[206:207], s[16:17], v[200:201]
	v_mul_f64 v[204:205], v[202:203], s[36:37]
	v_add_f64 v[12:13], v[206:207], v[12:13]
	v_fma_f64 v[206:207], s[26:27], v[4:5], v[204:205]
	v_add_f64 v[18:19], v[206:207], v[18:19]
	v_mul_f64 v[206:207], v[6:7], s[26:27]
	v_fma_f64 v[204:205], v[4:5], s[26:27], -v[204:205]
	v_add_f64 v[14:15], v[208:209], v[14:15]
	v_fma_f64 v[208:209], s[24:25], v[200:201], v[206:207]
	v_add_f64 v[16:17], v[204:205], v[16:17]
	v_fmac_f64_e32 v[206:207], s[36:37], v[200:201]
	v_mul_f64 v[204:205], v[202:203], s[40:41]
	v_add_f64 v[20:21], v[206:207], v[20:21]
	v_fma_f64 v[206:207], s[20:21], v[4:5], v[204:205]
	v_add_f64 v[26:27], v[206:207], v[26:27]
	v_mul_f64 v[206:207], v[6:7], s[20:21]
	v_fma_f64 v[204:205], v[4:5], s[20:21], -v[204:205]
	v_add_f64 v[22:23], v[208:209], v[22:23]
	v_fma_f64 v[208:209], s[18:19], v[200:201], v[206:207]
	v_add_f64 v[24:25], v[204:205], v[24:25]
	v_fmac_f64_e32 v[206:207], s[40:41], v[200:201]
	v_mul_f64 v[204:205], v[202:203], s[2:3]
	v_add_f64 v[30:31], v[208:209], v[30:31]
	v_add_f64 v[28:29], v[206:207], v[28:29]
	v_fma_f64 v[206:207], s[4:5], v[4:5], v[204:205]
	v_mul_f64 v[208:209], v[6:7], s[4:5]
	v_fma_f64 v[204:205], v[4:5], s[4:5], -v[204:205]
	v_fma_f64 v[210:211], s[28:29], v[200:201], v[208:209]
	v_add_f64 v[204:205], v[204:205], v[212:213]
	v_fmac_f64_e32 v[208:209], s[2:3], v[200:201]
	v_mul_f64 v[212:213], v[202:203], s[44:45]
	v_add_f64 v[206:207], v[206:207], v[214:215]
	v_add_f64 v[208:209], v[208:209], v[216:217]
	v_fma_f64 v[214:215], s[34:35], v[4:5], v[212:213]
	v_mul_f64 v[216:217], v[6:7], s[34:35]
	v_add_f64 v[214:215], v[214:215], v[220:221]
	v_fma_f64 v[220:221], s[30:31], v[200:201], v[216:217]
	v_fmac_f64_e32 v[216:217], s[44:45], v[200:201]
	v_mul_f64 v[6:7], v[6:7], s[14:15]
	v_fma_f64 v[212:213], v[4:5], s[34:35], -v[212:213]
	v_add_f64 v[216:217], v[216:217], v[222:223]
	v_mul_f64 v[202:203], v[202:203], s[42:43]
	v_fma_f64 v[222:223], s[12:13], v[200:201], v[6:7]
	v_fmac_f64_e32 v[6:7], s[42:43], v[200:201]
	v_add_f64 v[212:213], v[212:213], v[218:219]
	v_fma_f64 v[218:219], s[14:15], v[4:5], v[202:203]
	v_fma_f64 v[4:5], v[4:5], s[14:15], -v[202:203]
	v_add_f64 v[2:3], v[6:7], v[2:3]
	v_add_f64 v[6:7], v[194:195], v[198:199]
	v_add_f64 v[194:195], v[194:195], -v[198:199]
	v_add_f64 v[0:1], v[4:5], v[0:1]
	v_add_f64 v[4:5], v[192:193], v[196:197]
	v_add_f64 v[192:193], v[192:193], -v[196:197]
	v_mul_f64 v[196:197], v[194:195], s[24:25]
	v_fma_f64 v[198:199], s[26:27], v[4:5], v[196:197]
	v_add_f64 v[10:11], v[198:199], v[10:11]
	v_mul_f64 v[198:199], v[6:7], s[26:27]
	v_fma_f64 v[196:197], v[4:5], s[26:27], -v[196:197]
	v_fma_f64 v[200:201], s[36:37], v[192:193], v[198:199]
	v_add_f64 v[8:9], v[196:197], v[8:9]
	v_fmac_f64_e32 v[198:199], s[24:25], v[192:193]
	v_mul_f64 v[196:197], v[194:195], s[28:29]
	v_add_f64 v[12:13], v[198:199], v[12:13]
	v_fma_f64 v[198:199], s[4:5], v[4:5], v[196:197]
	v_add_f64 v[18:19], v[198:199], v[18:19]
	v_mul_f64 v[198:199], v[6:7], s[4:5]
	v_fma_f64 v[196:197], v[4:5], s[4:5], -v[196:197]
	v_add_f64 v[14:15], v[200:201], v[14:15]
	v_fma_f64 v[200:201], s[2:3], v[192:193], v[198:199]
	v_add_f64 v[16:17], v[196:197], v[16:17]
	v_fmac_f64_e32 v[198:199], s[28:29], v[192:193]
	v_mul_f64 v[196:197], v[194:195], s[12:13]
	v_add_f64 v[20:21], v[198:199], v[20:21]
	v_fma_f64 v[198:199], s[14:15], v[4:5], v[196:197]
	v_add_f64 v[26:27], v[198:199], v[26:27]
	v_mul_f64 v[198:199], v[6:7], s[14:15]
	v_fma_f64 v[196:197], v[4:5], s[14:15], -v[196:197]
	v_add_f64 v[22:23], v[200:201], v[22:23]
	v_fma_f64 v[200:201], s[42:43], v[192:193], v[198:199]
	v_add_f64 v[24:25], v[196:197], v[24:25]
	v_fmac_f64_e32 v[198:199], s[12:13], v[192:193]
	v_mul_f64 v[196:197], v[194:195], s[44:45]
	v_add_f64 v[244:245], v[244:245], v[252:253]
	v_add_f64 v[28:29], v[198:199], v[28:29]
	v_fma_f64 v[198:199], s[34:35], v[4:5], v[196:197]
	v_add_f64 v[236:237], v[236:237], v[250:251]
	v_add_f64 v[226:227], v[226:227], v[244:245]
	;; [unrolled: 1-line block ×4, first 2 shown]
	v_mul_f64 v[198:199], v[6:7], s[34:35]
	v_fma_f64 v[196:197], v[4:5], s[34:35], -v[196:197]
	v_add_f64 v[246:247], v[246:247], v[254:255]
	v_add_f64 v[228:229], v[228:229], v[236:237]
	;; [unrolled: 1-line block ×4, first 2 shown]
	v_fma_f64 v[200:201], s[30:31], v[192:193], v[198:199]
	v_add_f64 v[226:227], v[196:197], v[204:205]
	v_fmac_f64_e32 v[198:199], s[44:45], v[192:193]
	v_mul_f64 v[196:197], v[194:195], s[40:41]
	v_add_f64 v[230:231], v[230:231], v[246:247]
	v_add_f64 v[220:221], v[220:221], v[228:229]
	;; [unrolled: 1-line block ×3, first 2 shown]
	v_fma_f64 v[198:199], s[20:21], v[4:5], v[196:197]
	v_fma_f64 v[196:197], v[4:5], s[20:21], -v[196:197]
	v_mul_f64 v[194:195], v[194:195], s[16:17]
	v_add_f64 v[222:223], v[222:223], v[230:231]
	v_add_f64 v[230:231], v[198:199], v[214:215]
	v_mul_f64 v[198:199], v[6:7], s[20:21]
	v_add_f64 v[234:235], v[196:197], v[212:213]
	v_fma_f64 v[196:197], s[22:23], v[4:5], v[194:195]
	v_mul_f64 v[6:7], v[6:7], s[22:23]
	v_fma_f64 v[4:5], v[4:5], s[22:23], -v[194:195]
	v_add_f64 v[250:251], v[182:183], -v[190:191]
	v_add_f64 v[244:245], v[196:197], v[218:219]
	v_fma_f64 v[196:197], s[38:39], v[192:193], v[6:7]
	v_add_f64 v[0:1], v[4:5], v[0:1]
	v_fmac_f64_e32 v[6:7], s[16:17], v[192:193]
	v_add_f64 v[4:5], v[180:181], v[188:189]
	v_add_f64 v[248:249], v[180:181], -v[188:189]
	v_mul_f64 v[180:181], v[250:251], s[30:31]
	v_add_f64 v[2:3], v[6:7], v[2:3]
	v_add_f64 v[6:7], v[182:183], v[190:191]
	v_fma_f64 v[182:183], s[34:35], v[4:5], v[180:181]
	v_add_f64 v[188:189], v[182:183], v[10:11]
	v_mul_f64 v[10:11], v[6:7], s[34:35]
	v_fma_f64 v[182:183], s[44:45], v[248:249], v[10:11]
	v_add_f64 v[190:191], v[182:183], v[14:15]
	v_fma_f64 v[14:15], v[4:5], s[34:35], -v[180:181]
	v_add_f64 v[180:181], v[14:15], v[8:9]
	v_fmac_f64_e32 v[10:11], s[30:31], v[248:249]
	v_mul_f64 v[8:9], v[250:251], s[40:41]
	v_add_f64 v[182:183], v[10:11], v[12:13]
	v_fma_f64 v[10:11], s[20:21], v[4:5], v[8:9]
	v_add_f64 v[210:211], v[200:201], v[210:211]
	v_fma_f64 v[200:201], s[18:19], v[192:193], v[198:199]
	v_fmac_f64_e32 v[198:199], s[40:41], v[192:193]
	v_add_f64 v[192:193], v[10:11], v[18:19]
	v_mul_f64 v[10:11], v[6:7], s[20:21]
	v_fma_f64 v[8:9], v[4:5], s[20:21], -v[8:9]
	v_add_f64 v[246:247], v[196:197], v[222:223]
	v_fma_f64 v[12:13], s[18:19], v[248:249], v[10:11]
	v_add_f64 v[196:197], v[8:9], v[16:17]
	v_fmac_f64_e32 v[10:11], s[40:41], v[248:249]
	v_mul_f64 v[8:9], v[250:251], s[24:25]
	v_add_f64 v[236:237], v[198:199], v[216:217]
	v_add_f64 v[198:199], v[10:11], v[20:21]
	v_fma_f64 v[10:11], s[26:27], v[4:5], v[8:9]
	v_add_f64 v[220:221], v[200:201], v[220:221]
	v_add_f64 v[200:201], v[10:11], v[26:27]
	v_mul_f64 v[10:11], v[6:7], s[26:27]
	v_fma_f64 v[8:9], v[4:5], s[26:27], -v[8:9]
	v_add_f64 v[194:195], v[12:13], v[22:23]
	v_fma_f64 v[12:13], s[36:37], v[248:249], v[10:11]
	v_add_f64 v[204:205], v[8:9], v[24:25]
	v_fmac_f64_e32 v[10:11], s[24:25], v[248:249]
	v_mul_f64 v[8:9], v[250:251], s[42:43]
	v_add_f64 v[206:207], v[10:11], v[28:29]
	v_fma_f64 v[10:11], s[14:15], v[4:5], v[8:9]
	v_add_f64 v[208:209], v[10:11], v[224:225]
	v_mul_f64 v[10:11], v[6:7], s[14:15]
	v_fma_f64 v[8:9], v[4:5], s[14:15], -v[8:9]
	v_add_f64 v[202:203], v[12:13], v[30:31]
	v_fma_f64 v[12:13], s[12:13], v[248:249], v[10:11]
	v_add_f64 v[212:213], v[8:9], v[226:227]
	v_fmac_f64_e32 v[10:11], s[42:43], v[248:249]
	v_mul_f64 v[8:9], v[250:251], s[16:17]
	v_add_f64 v[214:215], v[10:11], v[228:229]
	v_fma_f64 v[10:11], s[22:23], v[4:5], v[8:9]
	v_add_f64 v[216:217], v[10:11], v[230:231]
	v_mul_f64 v[10:11], v[6:7], s[22:23]
	v_add_f64 v[210:211], v[12:13], v[210:211]
	v_fma_f64 v[12:13], s[38:39], v[248:249], v[10:11]
	v_fma_f64 v[8:9], v[4:5], s[22:23], -v[8:9]
	v_add_f64 v[218:219], v[12:13], v[220:221]
	v_add_f64 v[220:221], v[8:9], v[234:235]
	v_fmac_f64_e32 v[10:11], s[16:17], v[248:249]
	v_mul_f64 v[8:9], v[250:251], s[28:29]
	v_add_f64 v[222:223], v[10:11], v[236:237]
	v_fma_f64 v[10:11], s[4:5], v[4:5], v[8:9]
	v_mul_f64 v[6:7], v[6:7], s[4:5]
	v_add_f64 v[224:225], v[10:11], v[244:245]
	v_fma_f64 v[10:11], s[2:3], v[248:249], v[6:7]
	v_fma_f64 v[4:5], v[4:5], s[4:5], -v[8:9]
	v_fmac_f64_e32 v[6:7], s[28:29], v[248:249]
	v_add_f64 v[226:227], v[10:11], v[246:247]
	v_add_f64 v[228:229], v[4:5], v[0:1]
	;; [unrolled: 1-line block ×3, first 2 shown]
	s_barrier
	ds_write_b128 v240, v[184:187]
	ds_write_b128 v240, v[188:191] offset:16
	ds_write_b128 v240, v[192:195] offset:32
	;; [unrolled: 1-line block ×12, first 2 shown]
	s_waitcnt lgkmcnt(0)
	s_barrier
	ds_read_b128 v[188:191], v233
	ds_read_b128 v[228:231], v233 offset:2704
	ds_read_b128 v[224:227], v233 offset:5408
	;; [unrolled: 1-line block ×11, first 2 shown]
	s_and_saveexec_b64 s[0:1], vcc
	s_cbranch_execz .LBB0_7
; %bb.6:
	ds_read_b128 v[180:183], v233 offset:2496
	ds_read_b128 v[112:115], v233 offset:5200
	;; [unrolled: 1-line block ×6, first 2 shown]
.LBB0_7:
	s_or_b64 exec, exec, s[0:1]
	s_waitcnt lgkmcnt(7)
	v_mul_f64 v[12:13], v[74:75], v[206:207]
	v_mul_f64 v[14:15], v[74:75], v[204:205]
	;; [unrolled: 1-line block ×3, first 2 shown]
	v_fmac_f64_e32 v[12:13], v[72:73], v[204:205]
	v_fma_f64 v[14:15], v[72:73], v[206:207], -v[14:15]
	s_waitcnt lgkmcnt(1)
	v_mul_f64 v[72:73], v[94:95], v[200:201]
	v_fmac_f64_e32 v[4:5], v[80:81], v[224:225]
	v_mul_f64 v[24:25], v[98:99], v[214:215]
	v_mul_f64 v[26:27], v[98:99], v[212:213]
	v_fma_f64 v[98:99], v[92:93], v[202:203], -v[72:73]
	s_waitcnt lgkmcnt(0)
	v_mul_f64 v[72:73], v[110:111], v[196:197]
	v_mul_f64 v[0:1], v[86:87], v[230:231]
	;; [unrolled: 1-line block ×6, first 2 shown]
	v_fma_f64 v[102:103], v[108:109], v[198:199], -v[72:73]
	v_add_f64 v[72:73], v[188:189], v[4:5]
	v_fmac_f64_e32 v[0:1], v[84:85], v[228:229]
	v_fma_f64 v[2:3], v[84:85], v[230:231], -v[2:3]
	v_fma_f64 v[6:7], v[80:81], v[226:227], -v[6:7]
	v_add_f64 v[84:85], v[72:73], v[12:13]
	v_add_f64 v[72:73], v[4:5], v[12:13]
	s_mov_b32 s0, 0xe8584caa
	v_mul_f64 v[8:9], v[78:79], v[218:219]
	v_fmac_f64_e32 v[188:189], -0.5, v[72:73]
	v_add_f64 v[72:73], v[6:7], -v[14:15]
	s_mov_b32 s1, 0xbfebb67a
	s_mov_b32 s3, 0x3febb67a
	;; [unrolled: 1-line block ×3, first 2 shown]
	v_fmac_f64_e32 v[8:9], v[76:77], v[216:217]
	v_mul_f64 v[10:11], v[78:79], v[216:217]
	v_fmac_f64_e32 v[16:17], v[100:101], v[192:193]
	v_fma_f64 v[86:87], s[0:1], v[72:73], v[188:189]
	v_fmac_f64_e32 v[188:189], s[2:3], v[72:73]
	v_add_f64 v[72:73], v[190:191], v[6:7]
	v_add_f64 v[6:7], v[6:7], v[14:15]
	v_fma_f64 v[10:11], v[76:77], v[218:219], -v[10:11]
	v_fma_f64 v[18:19], v[100:101], v[194:195], -v[18:19]
	v_fmac_f64_e32 v[190:191], -0.5, v[6:7]
	v_add_f64 v[4:5], v[4:5], -v[12:13]
	v_add_f64 v[12:13], v[8:9], v[16:17]
	v_fma_f64 v[6:7], s[2:3], v[4:5], v[190:191]
	v_fmac_f64_e32 v[190:191], s[0:1], v[4:5]
	v_add_f64 v[4:5], v[0:1], v[8:9]
	v_fmac_f64_e32 v[0:1], -0.5, v[12:13]
	v_add_f64 v[12:13], v[10:11], -v[18:19]
	v_mul_f64 v[28:29], v[90:91], v[210:211]
	v_mul_f64 v[30:31], v[90:91], v[208:209]
	v_add_f64 v[90:91], v[72:73], v[14:15]
	v_fma_f64 v[14:15], s[0:1], v[12:13], v[0:1]
	v_fmac_f64_e32 v[0:1], s[2:3], v[12:13]
	v_add_f64 v[12:13], v[2:3], v[10:11]
	v_add_f64 v[10:11], v[10:11], v[18:19]
	v_fmac_f64_e32 v[2:3], -0.5, v[10:11]
	v_add_f64 v[8:9], v[8:9], -v[16:17]
	v_fma_f64 v[10:11], s[2:3], v[8:9], v[2:3]
	v_fmac_f64_e32 v[2:3], s[0:1], v[8:9]
	v_fmac_f64_e32 v[24:25], v[96:97], v[212:213]
	v_fma_f64 v[26:27], v[96:97], v[214:215], -v[26:27]
	v_mul_f64 v[96:97], v[94:95], v[202:203]
	v_add_f64 v[4:5], v[4:5], v[16:17]
	v_mul_f64 v[16:17], v[2:3], s[0:1]
	v_mul_f64 v[2:3], v[2:3], -0.5
	v_fmac_f64_e32 v[96:97], v[92:93], v[200:201]
	v_mul_f64 v[8:9], v[10:11], s[0:1]
	v_mul_f64 v[10:11], v[10:11], 0.5
	v_fmac_f64_e32 v[2:3], s[2:3], v[0:1]
	v_mul_f64 v[100:101], v[110:111], v[198:199]
	v_add_f64 v[12:13], v[12:13], v[18:19]
	v_fmac_f64_e32 v[8:9], 0.5, v[14:15]
	v_fmac_f64_e32 v[10:11], s[2:3], v[14:15]
	v_add_f64 v[82:83], v[190:191], v[2:3]
	v_add_f64 v[94:95], v[190:191], -v[2:3]
	v_add_f64 v[2:3], v[24:25], v[96:97]
	v_mul_f64 v[20:21], v[106:107], v[222:223]
	v_fmac_f64_e32 v[28:29], v[88:89], v[208:209]
	v_fma_f64 v[30:31], v[88:89], v[210:211], -v[30:31]
	v_fmac_f64_e32 v[100:101], v[108:109], v[196:197]
	v_add_f64 v[76:77], v[86:87], v[8:9]
	v_fmac_f64_e32 v[16:17], -0.5, v[0:1]
	v_add_f64 v[74:75], v[90:91], v[12:13]
	v_add_f64 v[78:79], v[6:7], v[10:11]
	v_add_f64 v[88:89], v[86:87], -v[8:9]
	v_add_f64 v[86:87], v[90:91], -v[12:13]
	;; [unrolled: 1-line block ×3, first 2 shown]
	v_add_f64 v[0:1], v[184:185], v[24:25]
	v_fmac_f64_e32 v[184:185], -0.5, v[2:3]
	v_add_f64 v[2:3], v[26:27], -v[98:99]
	v_add_f64 v[6:7], v[26:27], v[98:99]
	v_fmac_f64_e32 v[20:21], v[104:105], v[220:221]
	v_mul_f64 v[22:23], v[106:107], v[220:221]
	v_add_f64 v[72:73], v[84:85], v[4:5]
	v_add_f64 v[84:85], v[84:85], -v[4:5]
	v_fma_f64 v[4:5], s[0:1], v[2:3], v[184:185]
	v_fmac_f64_e32 v[184:185], s[2:3], v[2:3]
	v_add_f64 v[2:3], v[186:187], v[26:27]
	v_fmac_f64_e32 v[186:187], -0.5, v[6:7]
	v_add_f64 v[6:7], v[24:25], -v[96:97]
	v_add_f64 v[10:11], v[28:29], v[100:101]
	v_fma_f64 v[22:23], v[104:105], v[222:223], -v[22:23]
	v_fma_f64 v[8:9], s[2:3], v[6:7], v[186:187]
	v_fmac_f64_e32 v[186:187], s[0:1], v[6:7]
	v_add_f64 v[6:7], v[20:21], v[28:29]
	v_fmac_f64_e32 v[20:21], -0.5, v[10:11]
	v_add_f64 v[10:11], v[30:31], -v[102:103]
	v_add_f64 v[14:15], v[30:31], v[102:103]
	v_fma_f64 v[12:13], s[0:1], v[10:11], v[20:21]
	v_fmac_f64_e32 v[20:21], s[2:3], v[10:11]
	v_add_f64 v[10:11], v[22:23], v[30:31]
	v_fmac_f64_e32 v[22:23], -0.5, v[14:15]
	v_add_f64 v[14:15], v[28:29], -v[100:101]
	v_add_f64 v[80:81], v[188:189], v[16:17]
	v_add_f64 v[92:93], v[188:189], -v[16:17]
	v_fma_f64 v[16:17], s[2:3], v[14:15], v[22:23]
	v_fmac_f64_e32 v[22:23], s[0:1], v[14:15]
	v_mul_f64 v[14:15], v[16:17], s[0:1]
	v_mul_f64 v[16:17], v[16:17], 0.5
	v_fmac_f64_e32 v[14:15], 0.5, v[12:13]
	v_mul_f64 v[18:19], v[22:23], s[0:1]
	v_fmac_f64_e32 v[16:17], s[2:3], v[12:13]
	v_mul_f64 v[12:13], v[22:23], -0.5
	v_add_f64 v[0:1], v[0:1], v[96:97]
	v_add_f64 v[2:3], v[2:3], v[98:99]
	;; [unrolled: 1-line block ×4, first 2 shown]
	v_fmac_f64_e32 v[18:19], -0.5, v[20:21]
	v_fmac_f64_e32 v[12:13], s[2:3], v[20:21]
	v_add_f64 v[96:97], v[0:1], v[6:7]
	v_add_f64 v[100:101], v[4:5], v[14:15]
	v_add_f64 v[104:105], v[184:185], v[18:19]
	v_add_f64 v[98:99], v[2:3], v[10:11]
	v_add_f64 v[102:103], v[8:9], v[16:17]
	v_add_f64 v[106:107], v[186:187], v[12:13]
	v_add_f64 v[108:109], v[0:1], -v[6:7]
	v_add_f64 v[188:189], v[4:5], -v[14:15]
	v_add_f64 v[184:185], v[184:185], -v[18:19]
	v_add_f64 v[110:111], v[2:3], -v[10:11]
	v_add_f64 v[190:191], v[8:9], -v[16:17]
	v_add_f64 v[186:187], v[186:187], -v[12:13]
	s_barrier
	ds_write_b128 v241, v[72:75]
	ds_write_b128 v241, v[76:79] offset:208
	ds_write_b128 v241, v[80:83] offset:416
	;; [unrolled: 1-line block ×5, first 2 shown]
	ds_write_b128 v242, v[96:99]
	ds_write_b128 v242, v[100:103] offset:208
	ds_write_b128 v242, v[104:107] offset:416
	;; [unrolled: 1-line block ×5, first 2 shown]
	s_and_saveexec_b64 s[4:5], vcc
	s_cbranch_execz .LBB0_9
; %bb.8:
	v_mul_f64 v[16:17], v[58:59], v[122:123]
	v_mul_f64 v[18:19], v[70:71], v[130:131]
	;; [unrolled: 1-line block ×8, first 2 shown]
	v_fmac_f64_e32 v[16:17], v[56:57], v[120:121]
	v_fmac_f64_e32 v[18:19], v[68:69], v[128:129]
	v_fma_f64 v[22:23], v[56:57], v[122:123], -v[22:23]
	v_fma_f64 v[24:25], v[68:69], v[130:131], -v[24:25]
	;; [unrolled: 1-line block ×3, first 2 shown]
	v_mul_f64 v[0:1], v[66:67], v[116:117]
	v_mul_f64 v[2:3], v[62:63], v[136:137]
	v_fmac_f64_e32 v[6:7], v[64:65], v[116:117]
	v_fmac_f64_e32 v[8:9], v[60:61], v[136:137]
	;; [unrolled: 1-line block ×3, first 2 shown]
	v_add_f64 v[20:21], v[16:17], v[18:19]
	v_add_f64 v[26:27], v[22:23], -v[24:25]
	v_add_f64 v[52:53], v[22:23], v[24:25]
	v_add_f64 v[22:23], v[30:31], v[22:23]
	v_fma_f64 v[0:1], v[64:65], v[118:119], -v[0:1]
	v_fma_f64 v[2:3], v[60:61], v[138:139], -v[2:3]
	v_fma_f64 v[20:21], -0.5, v[20:21], v[14:15]
	v_fma_f64 v[56:57], -0.5, v[52:53], v[30:31]
	v_add_f64 v[52:53], v[16:17], -v[18:19]
	v_add_f64 v[22:23], v[22:23], v[24:25]
	v_add_f64 v[24:25], v[6:7], v[8:9]
	;; [unrolled: 1-line block ×3, first 2 shown]
	v_fma_f64 v[28:29], s[2:3], v[26:27], v[20:21]
	v_fma_f64 v[60:61], s[0:1], v[52:53], v[56:57]
	v_fmac_f64_e32 v[20:21], s[0:1], v[26:27]
	v_fmac_f64_e32 v[56:57], s[2:3], v[52:53]
	v_add_f64 v[26:27], v[182:183], v[0:1]
	v_fma_f64 v[24:25], -0.5, v[24:25], v[180:181]
	v_add_f64 v[0:1], v[0:1], -v[2:3]
	v_add_f64 v[26:27], v[26:27], v[2:3]
	v_fma_f64 v[2:3], s[2:3], v[0:1], v[24:25]
	v_fmac_f64_e32 v[24:25], s[0:1], v[0:1]
	v_mul_f64 v[0:1], v[56:57], s[0:1]
	v_fma_f64 v[4:5], -0.5, v[4:5], v[182:183]
	v_add_f64 v[10:11], v[6:7], -v[8:9]
	v_fmac_f64_e32 v[0:1], 0.5, v[20:21]
	v_add_f64 v[6:7], v[180:181], v[6:7]
	v_fma_f64 v[12:13], s[0:1], v[10:11], v[4:5]
	v_fmac_f64_e32 v[4:5], s[2:3], v[10:11]
	v_mul_f64 v[10:11], v[56:57], 0.5
	v_add_f64 v[56:57], v[24:25], -v[0:1]
	v_add_f64 v[6:7], v[6:7], v[8:9]
	v_add_f64 v[8:9], v[14:15], v[16:17]
	;; [unrolled: 1-line block ×3, first 2 shown]
	v_accvgpr_read_b32 v0, a1
	v_mul_f64 v[64:65], v[60:61], -0.5
	v_mul_f64 v[30:31], v[60:61], s[0:1]
	v_add_f64 v[8:9], v[8:9], v[18:19]
	v_and_b32_e32 v0, 0xff, v0
	v_fmac_f64_e32 v[64:65], s[2:3], v[28:29]
	v_fmac_f64_e32 v[10:11], s[2:3], v[20:21]
	v_fmac_f64_e32 v[30:31], -0.5, v[28:29]
	v_add_f64 v[74:75], v[26:27], v[22:23]
	v_add_f64 v[72:73], v[6:7], v[8:9]
	v_lshl_add_u32 v0, v0, 4, v238
	v_add_f64 v[54:55], v[12:13], -v[64:65]
	v_add_f64 v[58:59], v[4:5], -v[10:11]
	;; [unrolled: 1-line block ×5, first 2 shown]
	v_add_f64 v[66:67], v[12:13], v[64:65]
	v_add_f64 v[70:71], v[4:5], v[10:11]
	;; [unrolled: 1-line block ×3, first 2 shown]
	ds_write_b128 v0, v[72:75] offset:14976
	ds_write_b128 v0, v[68:71] offset:15184
	;; [unrolled: 1-line block ×6, first 2 shown]
.LBB0_9:
	s_or_b64 exec, exec, s[4:5]
	s_waitcnt lgkmcnt(0)
	s_barrier
	ds_read_b128 v[56:59], v233
	ds_read_b128 v[52:55], v233 offset:1248
	ds_read_b128 v[64:67], v233 offset:2496
	;; [unrolled: 1-line block ×12, first 2 shown]
	s_waitcnt lgkmcnt(11)
	v_mul_f64 v[2:3], v[158:159], v[52:53]
	v_mul_f64 v[0:1], v[158:159], v[54:55]
	v_fma_f64 v[2:3], v[156:157], v[54:55], -v[2:3]
	s_waitcnt lgkmcnt(10)
	v_mul_f64 v[6:7], v[142:143], v[64:65]
	v_fmac_f64_e32 v[0:1], v[156:157], v[52:53]
	v_mul_f64 v[4:5], v[142:143], v[66:67]
	v_fma_f64 v[6:7], v[140:141], v[66:67], -v[6:7]
	s_waitcnt lgkmcnt(9)
	v_mul_f64 v[8:9], v[134:135], v[68:69]
	v_add_f64 v[18:19], v[58:59], v[2:3]
	v_fmac_f64_e32 v[4:5], v[140:141], v[64:65]
	v_mul_f64 v[88:89], v[134:135], v[70:71]
	v_fma_f64 v[90:91], v[132:133], v[70:71], -v[8:9]
	s_waitcnt lgkmcnt(8)
	v_mul_f64 v[8:9], v[126:127], v[72:73]
	v_add_f64 v[16:17], v[56:57], v[0:1]
	v_add_f64 v[18:19], v[18:19], v[6:7]
	v_fmac_f64_e32 v[88:89], v[132:133], v[68:69]
	v_mul_f64 v[80:81], v[126:127], v[74:75]
	v_fma_f64 v[82:83], v[124:125], v[74:75], -v[8:9]
	s_waitcnt lgkmcnt(7)
	v_mul_f64 v[8:9], v[174:175], v[76:77]
	v_add_f64 v[16:17], v[16:17], v[4:5]
	;; [unrolled: 7-line block ×9, first 2 shown]
	v_add_f64 v[18:19], v[18:19], v[94:95]
	v_accvgpr_read_b32 v128, a0
	v_fmac_f64_e32 v[8:9], v[164:165], v[108:109]
	v_mul_f64 v[12:13], v[162:163], v[114:115]
	v_fma_f64 v[14:15], v[160:161], v[114:115], -v[14:15]
	v_add_f64 v[16:17], v[16:17], v[92:93]
	v_add_f64 v[18:19], v[18:19], v[10:11]
	s_mov_b32 s2, 0xebaa3ed8
	s_mov_b32 s26, 0xb2365da1
	;; [unrolled: 1-line block ×4, first 2 shown]
	v_mad_u64_u32 v[60:61], s[0:1], s10, v128, 0
	v_fmac_f64_e32 v[12:13], v[160:161], v[112:113]
	v_add_f64 v[16:17], v[16:17], v[8:9]
	v_add_f64 v[54:55], v[18:19], v[14:15]
	v_add_f64 v[18:19], v[2:3], v[14:15]
	s_mov_b32 s3, 0x3fbedb7d
	s_mov_b32 s27, 0xbfd6b1d8
	;; [unrolled: 1-line block ×5, first 2 shown]
	v_add_f64 v[52:53], v[16:17], v[12:13]
	v_add_f64 v[16:17], v[0:1], v[12:13]
	v_add_f64 v[0:1], v[0:1], -v[12:13]
	v_mul_f64 v[20:21], v[18:19], s[20:21]
	v_mul_f64 v[28:29], v[18:19], s[14:15]
	s_mov_b32 s0, 0x66966769
	v_mul_f64 v[100:101], v[18:19], s[2:3]
	s_mov_b32 s24, 0x2ef20147
	;; [unrolled: 2-line block ×5, first 2 shown]
	s_mov_b32 s42, s38
	v_add_f64 v[2:3], v[2:3], -v[14:15]
	s_mov_b32 s23, 0x3fddbe06
	s_mov_b32 s22, s18
	;; [unrolled: 1-line block ×12, first 2 shown]
	v_fma_f64 v[122:123], s[42:43], v[0:1], v[18:19]
	v_fmac_f64_e32 v[18:19], s[38:39], v[0:1]
	v_mul_f64 v[12:13], v[2:3], s[18:19]
	v_fma_f64 v[22:23], s[22:23], v[0:1], v[20:21]
	v_fmac_f64_e32 v[20:21], s[18:19], v[0:1]
	v_mul_f64 v[24:25], v[2:3], s[12:13]
	;; [unrolled: 3-line block ×6, first 2 shown]
	v_add_f64 v[0:1], v[58:59], v[18:19]
	v_add_f64 v[18:19], v[6:7], v[10:11]
	v_add_f64 v[6:7], v[6:7], -v[10:11]
	v_fma_f64 v[14:15], s[20:21], v[16:17], v[12:13]
	v_fma_f64 v[12:13], v[16:17], s[20:21], -v[12:13]
	v_fma_f64 v[26:27], s[14:15], v[16:17], v[24:25]
	v_fma_f64 v[24:25], v[16:17], s[14:15], -v[24:25]
	;; [unrolled: 2-line block ×6, first 2 shown]
	v_add_f64 v[16:17], v[4:5], v[8:9]
	v_add_f64 v[4:5], v[4:5], -v[8:9]
	v_mul_f64 v[8:9], v[6:7], s[12:13]
	v_add_f64 v[14:15], v[56:57], v[14:15]
	v_fma_f64 v[10:11], s[14:15], v[16:17], v[8:9]
	v_add_f64 v[10:11], v[10:11], v[14:15]
	v_mul_f64 v[14:15], v[18:19], s[14:15]
	v_add_f64 v[12:13], v[56:57], v[12:13]
	v_add_f64 v[20:21], v[58:59], v[20:21]
	;; [unrolled: 1-line block ×12, first 2 shown]
	v_fma_f64 v[56:57], s[16:17], v[4:5], v[14:15]
	v_fma_f64 v[8:9], v[16:17], s[14:15], -v[8:9]
	v_fmac_f64_e32 v[14:15], s[12:13], v[4:5]
	v_add_f64 v[8:9], v[8:9], v[12:13]
	v_add_f64 v[12:13], v[14:15], v[20:21]
	v_mul_f64 v[14:15], v[6:7], s[24:25]
	v_fma_f64 v[20:21], s[26:27], v[16:17], v[14:15]
	v_add_f64 v[22:23], v[58:59], v[22:23]
	v_add_f64 v[20:21], v[20:21], v[26:27]
	v_mul_f64 v[26:27], v[18:19], s[26:27]
	v_add_f64 v[28:29], v[58:59], v[28:29]
	v_add_f64 v[22:23], v[56:57], v[22:23]
	v_fma_f64 v[56:57], s[28:29], v[4:5], v[26:27]
	v_fma_f64 v[14:15], v[16:17], s[26:27], -v[14:15]
	v_fmac_f64_e32 v[26:27], s[24:25], v[4:5]
	v_add_f64 v[30:31], v[58:59], v[30:31]
	v_add_f64 v[14:15], v[14:15], v[24:25]
	;; [unrolled: 1-line block ×3, first 2 shown]
	v_mul_f64 v[26:27], v[6:7], s[38:39]
	v_add_f64 v[30:31], v[56:57], v[30:31]
	v_fma_f64 v[28:29], s[40:41], v[16:17], v[26:27]
	v_mul_f64 v[56:57], v[18:19], s[40:41]
	v_fma_f64 v[26:27], v[16:17], s[40:41], -v[26:27]
	v_add_f64 v[102:103], v[58:59], v[102:103]
	v_add_f64 v[100:101], v[58:59], v[100:101]
	;; [unrolled: 1-line block ×7, first 2 shown]
	v_fma_f64 v[58:59], s[42:43], v[4:5], v[56:57]
	v_add_f64 v[26:27], v[26:27], v[96:97]
	v_fmac_f64_e32 v[56:57], s[38:39], v[4:5]
	v_mul_f64 v[96:97], v[6:7], s[36:37]
	v_add_f64 v[28:29], v[28:29], v[98:99]
	v_add_f64 v[56:57], v[56:57], v[100:101]
	v_fma_f64 v[98:99], s[34:35], v[16:17], v[96:97]
	v_mul_f64 v[100:101], v[18:19], s[34:35]
	v_fma_f64 v[96:97], v[16:17], s[34:35], -v[96:97]
	v_add_f64 v[58:59], v[58:59], v[102:103]
	v_fma_f64 v[102:103], s[30:31], v[4:5], v[100:101]
	v_add_f64 v[96:97], v[96:97], v[104:105]
	v_fmac_f64_e32 v[100:101], s[36:37], v[4:5]
	v_mul_f64 v[104:105], v[6:7], s[4:5]
	v_add_f64 v[98:99], v[98:99], v[106:107]
	v_add_f64 v[100:101], v[100:101], v[108:109]
	v_fma_f64 v[106:107], s[2:3], v[16:17], v[104:105]
	v_mul_f64 v[108:109], v[18:19], s[2:3]
	v_mul_f64 v[18:19], v[18:19], s[20:21]
	v_add_f64 v[106:107], v[106:107], v[114:115]
	v_fma_f64 v[114:115], s[18:19], v[4:5], v[18:19]
	v_fmac_f64_e32 v[18:19], s[22:23], v[4:5]
	v_fma_f64 v[104:105], v[16:17], s[2:3], -v[104:105]
	v_mul_f64 v[6:7], v[6:7], s[22:23]
	v_add_f64 v[0:1], v[18:19], v[0:1]
	v_add_f64 v[18:19], v[90:91], -v[94:95]
	v_add_f64 v[102:103], v[102:103], v[110:111]
	v_fma_f64 v[110:111], s[0:1], v[4:5], v[108:109]
	v_add_f64 v[104:105], v[104:105], v[112:113]
	v_fmac_f64_e32 v[108:109], s[4:5], v[4:5]
	v_fma_f64 v[112:113], s[20:21], v[16:17], v[6:7]
	v_fma_f64 v[6:7], v[16:17], s[20:21], -v[6:7]
	v_add_f64 v[4:5], v[88:89], v[92:93]
	v_add_f64 v[16:17], v[88:89], -v[92:93]
	v_mul_f64 v[88:89], v[18:19], s[0:1]
	v_add_f64 v[2:3], v[6:7], v[2:3]
	v_add_f64 v[6:7], v[90:91], v[94:95]
	v_fma_f64 v[90:91], s[2:3], v[4:5], v[88:89]
	v_add_f64 v[10:11], v[90:91], v[10:11]
	v_mul_f64 v[90:91], v[6:7], s[2:3]
	v_fma_f64 v[88:89], v[4:5], s[2:3], -v[88:89]
	v_fma_f64 v[92:93], s[4:5], v[16:17], v[90:91]
	v_add_f64 v[8:9], v[88:89], v[8:9]
	v_fmac_f64_e32 v[90:91], s[0:1], v[16:17]
	v_mul_f64 v[88:89], v[18:19], s[38:39]
	v_add_f64 v[12:13], v[90:91], v[12:13]
	v_fma_f64 v[90:91], s[40:41], v[4:5], v[88:89]
	v_add_f64 v[20:21], v[90:91], v[20:21]
	v_mul_f64 v[90:91], v[6:7], s[40:41]
	v_fma_f64 v[88:89], v[4:5], s[40:41], -v[88:89]
	v_add_f64 v[22:23], v[92:93], v[22:23]
	v_fma_f64 v[92:93], s[42:43], v[16:17], v[90:91]
	v_add_f64 v[14:15], v[88:89], v[14:15]
	v_fmac_f64_e32 v[90:91], s[38:39], v[16:17]
	v_mul_f64 v[88:89], v[18:19], s[28:29]
	v_add_f64 v[24:25], v[90:91], v[24:25]
	v_fma_f64 v[90:91], s[26:27], v[4:5], v[88:89]
	v_add_f64 v[28:29], v[90:91], v[28:29]
	v_mul_f64 v[90:91], v[6:7], s[26:27]
	v_fma_f64 v[88:89], v[4:5], s[26:27], -v[88:89]
	v_add_f64 v[30:31], v[92:93], v[30:31]
	v_fma_f64 v[92:93], s[24:25], v[16:17], v[90:91]
	v_add_f64 v[26:27], v[88:89], v[26:27]
	v_fmac_f64_e32 v[90:91], s[28:29], v[16:17]
	v_mul_f64 v[88:89], v[18:19], s[22:23]
	v_add_f64 v[56:57], v[90:91], v[56:57]
	v_fma_f64 v[90:91], s[20:21], v[4:5], v[88:89]
	v_fma_f64 v[88:89], v[4:5], s[20:21], -v[88:89]
	v_add_f64 v[58:59], v[92:93], v[58:59]
	v_mul_f64 v[92:93], v[6:7], s[20:21]
	v_add_f64 v[88:89], v[88:89], v[96:97]
	v_mul_f64 v[96:97], v[18:19], s[12:13]
	v_add_f64 v[90:91], v[90:91], v[98:99]
	v_fma_f64 v[94:95], s[18:19], v[16:17], v[92:93]
	v_fmac_f64_e32 v[92:93], s[22:23], v[16:17]
	v_fma_f64 v[98:99], s[14:15], v[4:5], v[96:97]
	v_fma_f64 v[96:97], v[4:5], s[14:15], -v[96:97]
	v_mul_f64 v[18:19], v[18:19], s[30:31]
	v_add_f64 v[92:93], v[92:93], v[100:101]
	v_mul_f64 v[100:101], v[6:7], s[14:15]
	v_add_f64 v[96:97], v[96:97], v[104:105]
	v_fma_f64 v[104:105], s[34:35], v[4:5], v[18:19]
	v_mul_f64 v[6:7], v[6:7], s[34:35]
	v_fma_f64 v[4:5], v[4:5], s[34:35], -v[18:19]
	v_add_f64 v[18:19], v[82:83], -v[86:87]
	v_add_f64 v[94:95], v[94:95], v[102:103]
	v_add_f64 v[98:99], v[98:99], v[106:107]
	v_fma_f64 v[102:103], s[16:17], v[16:17], v[100:101]
	v_fmac_f64_e32 v[100:101], s[12:13], v[16:17]
	v_fma_f64 v[106:107], s[36:37], v[16:17], v[6:7]
	v_add_f64 v[2:3], v[4:5], v[2:3]
	v_fmac_f64_e32 v[6:7], s[30:31], v[16:17]
	v_add_f64 v[4:5], v[80:81], v[84:85]
	v_add_f64 v[16:17], v[80:81], -v[84:85]
	v_mul_f64 v[80:81], v[18:19], s[24:25]
	v_add_f64 v[0:1], v[6:7], v[0:1]
	v_add_f64 v[6:7], v[82:83], v[86:87]
	v_fma_f64 v[82:83], s[26:27], v[4:5], v[80:81]
	v_add_f64 v[10:11], v[82:83], v[10:11]
	v_mul_f64 v[82:83], v[6:7], s[26:27]
	v_fma_f64 v[80:81], v[4:5], s[26:27], -v[80:81]
	v_fma_f64 v[84:85], s[28:29], v[16:17], v[82:83]
	v_add_f64 v[8:9], v[80:81], v[8:9]
	v_fmac_f64_e32 v[82:83], s[24:25], v[16:17]
	v_mul_f64 v[80:81], v[18:19], s[36:37]
	v_add_f64 v[12:13], v[82:83], v[12:13]
	v_fma_f64 v[82:83], s[34:35], v[4:5], v[80:81]
	v_add_f64 v[20:21], v[82:83], v[20:21]
	v_mul_f64 v[82:83], v[6:7], s[34:35]
	v_fma_f64 v[80:81], v[4:5], s[34:35], -v[80:81]
	v_add_f64 v[22:23], v[84:85], v[22:23]
	v_fma_f64 v[84:85], s[30:31], v[16:17], v[82:83]
	v_add_f64 v[14:15], v[80:81], v[14:15]
	v_fmac_f64_e32 v[82:83], s[36:37], v[16:17]
	v_mul_f64 v[80:81], v[18:19], s[22:23]
	v_add_f64 v[24:25], v[82:83], v[24:25]
	v_fma_f64 v[82:83], s[20:21], v[4:5], v[80:81]
	v_add_f64 v[28:29], v[82:83], v[28:29]
	v_mul_f64 v[82:83], v[6:7], s[20:21]
	v_fma_f64 v[80:81], v[4:5], s[20:21], -v[80:81]
	v_add_f64 v[30:31], v[84:85], v[30:31]
	v_fma_f64 v[84:85], s[18:19], v[16:17], v[82:83]
	v_add_f64 v[26:27], v[80:81], v[26:27]
	v_fmac_f64_e32 v[82:83], s[22:23], v[16:17]
	v_mul_f64 v[80:81], v[18:19], s[0:1]
	v_add_f64 v[56:57], v[82:83], v[56:57]
	v_fma_f64 v[82:83], s[2:3], v[4:5], v[80:81]
	v_fma_f64 v[80:81], v[4:5], s[2:3], -v[80:81]
	v_add_f64 v[58:59], v[84:85], v[58:59]
	v_mul_f64 v[84:85], v[6:7], s[2:3]
	v_add_f64 v[80:81], v[80:81], v[88:89]
	v_mul_f64 v[88:89], v[18:19], s[42:43]
	v_add_f64 v[82:83], v[82:83], v[90:91]
	v_fma_f64 v[86:87], s[4:5], v[16:17], v[84:85]
	v_fmac_f64_e32 v[84:85], s[0:1], v[16:17]
	v_fma_f64 v[90:91], s[40:41], v[4:5], v[88:89]
	v_fma_f64 v[88:89], v[4:5], s[40:41], -v[88:89]
	v_mul_f64 v[18:19], v[18:19], s[16:17]
	v_add_f64 v[84:85], v[84:85], v[92:93]
	v_mul_f64 v[92:93], v[6:7], s[40:41]
	v_add_f64 v[88:89], v[88:89], v[96:97]
	v_fma_f64 v[96:97], s[14:15], v[4:5], v[18:19]
	v_mul_f64 v[6:7], v[6:7], s[14:15]
	v_fma_f64 v[4:5], v[4:5], s[14:15], -v[18:19]
	v_add_f64 v[18:19], v[74:75], -v[78:79]
	v_add_f64 v[86:87], v[86:87], v[94:95]
	v_add_f64 v[90:91], v[90:91], v[98:99]
	v_fma_f64 v[94:95], s[38:39], v[16:17], v[92:93]
	v_fmac_f64_e32 v[92:93], s[42:43], v[16:17]
	v_fma_f64 v[98:99], s[12:13], v[16:17], v[6:7]
	v_add_f64 v[2:3], v[4:5], v[2:3]
	v_fmac_f64_e32 v[6:7], s[16:17], v[16:17]
	v_add_f64 v[4:5], v[72:73], v[76:77]
	v_add_f64 v[16:17], v[72:73], -v[76:77]
	v_mul_f64 v[72:73], v[18:19], s[30:31]
	v_add_f64 v[0:1], v[6:7], v[0:1]
	v_add_f64 v[6:7], v[74:75], v[78:79]
	v_fma_f64 v[74:75], s[34:35], v[4:5], v[72:73]
	v_add_f64 v[10:11], v[74:75], v[10:11]
	v_mul_f64 v[74:75], v[6:7], s[34:35]
	v_fma_f64 v[72:73], v[4:5], s[34:35], -v[72:73]
	v_fma_f64 v[76:77], s[36:37], v[16:17], v[74:75]
	v_add_f64 v[8:9], v[72:73], v[8:9]
	v_fmac_f64_e32 v[74:75], s[30:31], v[16:17]
	v_mul_f64 v[72:73], v[18:19], s[4:5]
	v_add_f64 v[12:13], v[74:75], v[12:13]
	v_fma_f64 v[74:75], s[2:3], v[4:5], v[72:73]
	v_add_f64 v[20:21], v[74:75], v[20:21]
	v_mul_f64 v[74:75], v[6:7], s[2:3]
	v_fma_f64 v[72:73], v[4:5], s[2:3], -v[72:73]
	v_add_f64 v[22:23], v[76:77], v[22:23]
	v_fma_f64 v[76:77], s[0:1], v[16:17], v[74:75]
	v_add_f64 v[14:15], v[72:73], v[14:15]
	v_fmac_f64_e32 v[74:75], s[4:5], v[16:17]
	v_mul_f64 v[72:73], v[18:19], s[12:13]
	v_add_f64 v[24:25], v[74:75], v[24:25]
	v_fma_f64 v[74:75], s[14:15], v[4:5], v[72:73]
	v_add_f64 v[108:109], v[108:109], v[116:117]
	v_add_f64 v[28:29], v[74:75], v[28:29]
	v_mul_f64 v[74:75], v[6:7], s[14:15]
	v_add_f64 v[100:101], v[100:101], v[108:109]
	v_add_f64 v[30:31], v[76:77], v[30:31]
	v_fma_f64 v[76:77], s[16:17], v[16:17], v[74:75]
	v_fmac_f64_e32 v[74:75], s[12:13], v[16:17]
	v_add_f64 v[110:111], v[110:111], v[118:119]
	v_add_f64 v[92:93], v[92:93], v[100:101]
	;; [unrolled: 1-line block ×3, first 2 shown]
	v_fma_f64 v[58:59], v[4:5], s[14:15], -v[72:73]
	v_add_f64 v[100:101], v[74:75], v[56:57]
	v_mul_f64 v[56:57], v[18:19], s[42:43]
	v_add_f64 v[112:113], v[112:113], v[120:121]
	v_add_f64 v[102:103], v[102:103], v[110:111]
	v_add_f64 v[26:27], v[58:59], v[26:27]
	v_fma_f64 v[58:59], s[40:41], v[4:5], v[56:57]
	v_add_f64 v[114:115], v[114:115], v[122:123]
	v_add_f64 v[104:105], v[104:105], v[112:113]
	;; [unrolled: 1-line block ×4, first 2 shown]
	v_mul_f64 v[58:59], v[6:7], s[40:41]
	v_fma_f64 v[56:57], v[4:5], s[40:41], -v[56:57]
	v_add_f64 v[106:107], v[106:107], v[114:115]
	v_add_f64 v[96:97], v[96:97], v[104:105]
	v_fma_f64 v[72:73], s[38:39], v[16:17], v[58:59]
	v_add_f64 v[104:105], v[56:57], v[80:81]
	v_fmac_f64_e32 v[58:59], s[42:43], v[16:17]
	v_mul_f64 v[56:57], v[18:19], s[22:23]
	v_add_f64 v[98:99], v[98:99], v[106:107]
	v_add_f64 v[106:107], v[58:59], v[84:85]
	v_fma_f64 v[58:59], s[20:21], v[4:5], v[56:57]
	v_fma_f64 v[56:57], v[4:5], s[20:21], -v[56:57]
	v_mul_f64 v[18:19], v[18:19], s[24:25]
	v_add_f64 v[108:109], v[58:59], v[90:91]
	v_mul_f64 v[58:59], v[6:7], s[20:21]
	v_add_f64 v[110:111], v[56:57], v[88:89]
	v_fma_f64 v[56:57], s[26:27], v[4:5], v[18:19]
	v_mul_f64 v[6:7], v[6:7], s[26:27]
	v_fma_f64 v[4:5], v[4:5], s[26:27], -v[18:19]
	v_add_f64 v[18:19], v[66:67], -v[70:71]
	v_add_f64 v[86:87], v[72:73], v[86:87]
	v_fma_f64 v[72:73], s[18:19], v[16:17], v[58:59]
	v_fmac_f64_e32 v[58:59], s[22:23], v[16:17]
	v_add_f64 v[114:115], v[56:57], v[96:97]
	v_fma_f64 v[56:57], s[28:29], v[16:17], v[6:7]
	v_add_f64 v[2:3], v[4:5], v[2:3]
	v_fmac_f64_e32 v[6:7], s[24:25], v[16:17]
	v_add_f64 v[4:5], v[64:65], v[68:69]
	v_add_f64 v[16:17], v[64:65], -v[68:69]
	v_mul_f64 v[64:65], v[18:19], s[38:39]
	v_add_f64 v[116:117], v[56:57], v[98:99]
	v_add_f64 v[0:1], v[6:7], v[0:1]
	;; [unrolled: 1-line block ×3, first 2 shown]
	v_fma_f64 v[56:57], s[40:41], v[4:5], v[64:65]
	v_add_f64 v[56:57], v[56:57], v[10:11]
	v_mul_f64 v[10:11], v[6:7], s[40:41]
	v_add_f64 v[112:113], v[58:59], v[92:93]
	v_fma_f64 v[58:59], s[42:43], v[16:17], v[10:11]
	v_add_f64 v[58:59], v[58:59], v[22:23]
	v_fma_f64 v[22:23], v[4:5], s[40:41], -v[64:65]
	v_add_f64 v[64:65], v[22:23], v[8:9]
	v_fmac_f64_e32 v[10:11], s[38:39], v[16:17]
	v_mul_f64 v[8:9], v[18:19], s[22:23]
	v_add_f64 v[66:67], v[10:11], v[12:13]
	v_fma_f64 v[10:11], s[20:21], v[4:5], v[8:9]
	v_add_f64 v[68:69], v[10:11], v[20:21]
	v_mul_f64 v[10:11], v[6:7], s[20:21]
	v_fma_f64 v[8:9], v[4:5], s[20:21], -v[8:9]
	v_add_f64 v[94:95], v[72:73], v[94:95]
	v_fma_f64 v[12:13], s[18:19], v[16:17], v[10:11]
	v_add_f64 v[72:73], v[8:9], v[14:15]
	v_fmac_f64_e32 v[10:11], s[22:23], v[16:17]
	v_mul_f64 v[8:9], v[18:19], s[30:31]
	v_add_f64 v[74:75], v[10:11], v[24:25]
	v_fma_f64 v[10:11], s[34:35], v[4:5], v[8:9]
	v_add_f64 v[76:77], v[10:11], v[28:29]
	v_mul_f64 v[10:11], v[6:7], s[34:35]
	v_fma_f64 v[8:9], v[4:5], s[34:35], -v[8:9]
	v_add_f64 v[70:71], v[12:13], v[30:31]
	v_fma_f64 v[12:13], s[36:37], v[16:17], v[10:11]
	v_add_f64 v[80:81], v[8:9], v[26:27]
	v_fmac_f64_e32 v[10:11], s[30:31], v[16:17]
	v_mul_f64 v[8:9], v[18:19], s[16:17]
	v_add_f64 v[82:83], v[10:11], v[100:101]
	v_fma_f64 v[10:11], s[14:15], v[4:5], v[8:9]
	v_add_f64 v[84:85], v[10:11], v[102:103]
	v_mul_f64 v[10:11], v[6:7], s[14:15]
	v_fma_f64 v[8:9], v[4:5], s[14:15], -v[8:9]
	v_add_f64 v[78:79], v[12:13], v[78:79]
	v_fma_f64 v[12:13], s[12:13], v[16:17], v[10:11]
	v_add_f64 v[88:89], v[8:9], v[104:105]
	v_fmac_f64_e32 v[10:11], s[16:17], v[16:17]
	v_mul_f64 v[8:9], v[18:19], s[24:25]
	v_add_f64 v[90:91], v[10:11], v[106:107]
	v_fma_f64 v[10:11], s[26:27], v[4:5], v[8:9]
	v_add_f64 v[92:93], v[10:11], v[108:109]
	v_mul_f64 v[10:11], v[6:7], s[26:27]
	v_fma_f64 v[8:9], v[4:5], s[26:27], -v[8:9]
	v_add_f64 v[86:87], v[12:13], v[86:87]
	v_fma_f64 v[12:13], s[28:29], v[16:17], v[10:11]
	v_add_f64 v[96:97], v[8:9], v[110:111]
	v_fmac_f64_e32 v[10:11], s[24:25], v[16:17]
	v_mul_f64 v[8:9], v[18:19], s[4:5]
	v_add_f64 v[98:99], v[10:11], v[112:113]
	v_fma_f64 v[10:11], s[2:3], v[4:5], v[8:9]
	v_mul_f64 v[6:7], v[6:7], s[2:3]
	v_add_f64 v[100:101], v[10:11], v[114:115]
	v_fma_f64 v[10:11], s[0:1], v[16:17], v[6:7]
	v_fma_f64 v[4:5], v[4:5], s[2:3], -v[8:9]
	v_fmac_f64_e32 v[6:7], s[4:5], v[16:17]
	v_add_f64 v[94:95], v[12:13], v[94:95]
	v_add_f64 v[102:103], v[10:11], v[116:117]
	;; [unrolled: 1-line block ×4, first 2 shown]
	ds_write_b128 v233, v[52:55]
	ds_write_b128 v233, v[56:59] offset:1248
	ds_write_b128 v233, v[68:71] offset:2496
	;; [unrolled: 1-line block ×12, first 2 shown]
	s_waitcnt lgkmcnt(0)
	s_barrier
	ds_read_b128 v[52:55], v233
	ds_read_b128 v[56:59], v233 offset:1248
	v_mov_b32_e32 v62, v61
	v_mad_u64_u32 v[0:1], s[0:1], s11, v128, v[62:63]
	v_mov_b32_e32 v61, v0
	s_waitcnt lgkmcnt(1)
	v_mul_f64 v[0:1], v[38:39], v[54:55]
	s_mov_b32 s0, 0xfc7729e9
	v_fmac_f64_e32 v[0:1], v[36:37], v[52:53]
	s_mov_b32 s1, 0x3f502864
	v_mul_f64 v[62:63], v[0:1], s[0:1]
	v_mul_f64 v[0:1], v[38:39], v[52:53]
	v_fma_f64 v[0:1], v[36:37], v[54:55], -v[0:1]
	v_mul_f64 v[64:65], v[0:1], s[0:1]
	v_mad_u64_u32 v[0:1], s[2:3], s8, v232, 0
	v_mov_b32_e32 v2, v1
	v_mad_u64_u32 v[2:3], s[2:3], s9, v232, v[2:3]
	v_mov_b32_e32 v1, v2
	v_lshlrev_b64 v[2:3], 4, v[60:61]
	v_mov_b32_e32 v4, s7
	v_add_co_u32_e32 v2, vcc, s6, v2
	v_addc_co_u32_e32 v3, vcc, v4, v3, vcc
	v_lshlrev_b64 v[0:1], 4, v[0:1]
	v_accvgpr_read_b32 v7, a5
	v_add_co_u32_e32 v0, vcc, v2, v0
	v_accvgpr_read_b32 v6, a4
	v_addc_co_u32_e32 v1, vcc, v3, v1, vcc
	v_accvgpr_read_b32 v5, a3
	v_accvgpr_read_b32 v4, a2
	s_waitcnt lgkmcnt(0)
	v_mul_f64 v[2:3], v[6:7], v[58:59]
	v_fmac_f64_e32 v[2:3], v[4:5], v[56:57]
	v_mul_f64 v[36:37], v[2:3], s[0:1]
	v_mul_f64 v[2:3], v[6:7], v[56:57]
	v_fma_f64 v[2:3], v[4:5], v[58:59], -v[2:3]
	v_mov_b32_e32 v16, 0x4e0
	global_store_dwordx4 v[0:1], v[62:65], off
	v_mul_f64 v[38:39], v[2:3], s[0:1]
	v_mad_u64_u32 v[4:5], s[2:3], s8, v16, v[0:1]
	ds_read_b128 v[0:3], v233 offset:2496
	s_mul_i32 s2, s9, 0x4e0
	v_add_u32_e32 v5, s2, v5
	v_accvgpr_read_b32 v8, a26
	global_store_dwordx4 v[4:5], v[36:39], off
	ds_read_b128 v[36:39], v233 offset:3744
	v_accvgpr_read_b32 v10, a28
	v_accvgpr_read_b32 v11, a29
	;; [unrolled: 1-line block ×3, first 2 shown]
	s_waitcnt lgkmcnt(1)
	v_mul_f64 v[6:7], v[10:11], v[2:3]
	v_fmac_f64_e32 v[6:7], v[8:9], v[0:1]
	v_mul_f64 v[0:1], v[10:11], v[0:1]
	v_mul_f64 v[52:53], v[6:7], s[0:1]
	v_fma_f64 v[0:1], v[8:9], v[2:3], -v[0:1]
	v_mad_u64_u32 v[8:9], s[4:5], s8, v16, v[4:5]
	v_accvgpr_read_b32 v4, a6
	v_accvgpr_read_b32 v6, a8
	;; [unrolled: 1-line block ×3, first 2 shown]
	v_mul_f64 v[54:55], v[0:1], s[0:1]
	v_accvgpr_read_b32 v5, a7
	s_waitcnt lgkmcnt(0)
	v_mul_f64 v[0:1], v[6:7], v[38:39]
	v_mul_f64 v[2:3], v[6:7], v[36:37]
	v_fmac_f64_e32 v[0:1], v[4:5], v[36:37]
	v_fma_f64 v[2:3], v[4:5], v[38:39], -v[2:3]
	ds_read_b128 v[4:7], v233 offset:4992
	v_add_u32_e32 v9, s2, v9
	global_store_dwordx4 v[8:9], v[52:55], off
	v_mad_u64_u32 v[8:9], s[4:5], s8, v16, v[8:9]
	v_mul_f64 v[0:1], v[0:1], s[0:1]
	v_mul_f64 v[2:3], v[2:3], s[0:1]
	v_add_u32_e32 v9, s2, v9
	global_store_dwordx4 v[8:9], v[0:3], off
	ds_read_b128 v[0:3], v233 offset:6240
	s_waitcnt lgkmcnt(1)
	v_mul_f64 v[10:11], v[42:43], v[6:7]
	v_fmac_f64_e32 v[10:11], v[40:41], v[4:5]
	v_mul_f64 v[24:25], v[10:11], s[0:1]
	v_mul_f64 v[4:5], v[42:43], v[4:5]
	v_accvgpr_read_b32 v10, a14
	v_fma_f64 v[4:5], v[40:41], v[6:7], -v[4:5]
	v_accvgpr_read_b32 v12, a16
	v_accvgpr_read_b32 v13, a17
	v_mul_f64 v[26:27], v[4:5], s[0:1]
	v_accvgpr_read_b32 v11, a15
	s_waitcnt lgkmcnt(0)
	v_mul_f64 v[4:5], v[12:13], v[2:3]
	v_fmac_f64_e32 v[4:5], v[10:11], v[0:1]
	v_mul_f64 v[0:1], v[12:13], v[0:1]
	v_fma_f64 v[0:1], v[10:11], v[2:3], -v[0:1]
	v_mul_f64 v[6:7], v[0:1], s[0:1]
	ds_read_b128 v[0:3], v233 offset:7488
	v_mad_u64_u32 v[8:9], s[4:5], s8, v16, v[8:9]
	v_add_u32_e32 v9, s2, v9
	global_store_dwordx4 v[8:9], v[24:27], off
	v_mad_u64_u32 v[8:9], s[4:5], s8, v16, v[8:9]
	v_mul_f64 v[4:5], v[4:5], s[0:1]
	v_add_u32_e32 v9, s2, v9
	global_store_dwordx4 v[8:9], v[4:7], off
	ds_read_b128 v[4:7], v233 offset:8736
	s_waitcnt lgkmcnt(1)
	v_mul_f64 v[10:11], v[46:47], v[2:3]
	v_fmac_f64_e32 v[10:11], v[44:45], v[0:1]
	v_mul_f64 v[0:1], v[46:47], v[0:1]
	v_fma_f64 v[0:1], v[44:45], v[2:3], -v[0:1]
	v_mad_u64_u32 v[8:9], s[4:5], s8, v16, v[8:9]
	v_mul_f64 v[12:13], v[10:11], s[0:1]
	v_mul_f64 v[14:15], v[0:1], s[0:1]
	v_add_u32_e32 v9, s2, v9
	global_store_dwordx4 v[8:9], v[12:15], off
	v_accvgpr_read_b32 v10, a18
	v_accvgpr_read_b32 v12, a20
	;; [unrolled: 1-line block ×4, first 2 shown]
	s_waitcnt lgkmcnt(0)
	v_mul_f64 v[0:1], v[12:13], v[6:7]
	v_mul_f64 v[2:3], v[12:13], v[4:5]
	v_fmac_f64_e32 v[0:1], v[10:11], v[4:5]
	v_fma_f64 v[2:3], v[10:11], v[6:7], -v[2:3]
	ds_read_b128 v[4:7], v233 offset:9984
	v_mad_u64_u32 v[8:9], s[4:5], s8, v16, v[8:9]
	v_mul_f64 v[0:1], v[0:1], s[0:1]
	v_mul_f64 v[2:3], v[2:3], s[0:1]
	v_add_u32_e32 v9, s2, v9
	global_store_dwordx4 v[8:9], v[0:3], off
	ds_read_b128 v[0:3], v233 offset:11232
	s_waitcnt lgkmcnt(1)
	v_mul_f64 v[10:11], v[50:51], v[6:7]
	v_fmac_f64_e32 v[10:11], v[48:49], v[4:5]
	v_mul_f64 v[4:5], v[50:51], v[4:5]
	v_fma_f64 v[4:5], v[48:49], v[6:7], -v[4:5]
	v_mad_u64_u32 v[8:9], s[4:5], s8, v16, v[8:9]
	v_mul_f64 v[12:13], v[10:11], s[0:1]
	v_mul_f64 v[14:15], v[4:5], s[0:1]
	v_add_u32_e32 v9, s2, v9
	global_store_dwordx4 v[8:9], v[12:15], off
	v_accvgpr_read_b32 v10, a22
	v_accvgpr_read_b32 v12, a24
	;; [unrolled: 1-line block ×4, first 2 shown]
	s_waitcnt lgkmcnt(0)
	v_mul_f64 v[4:5], v[12:13], v[2:3]
	v_fmac_f64_e32 v[4:5], v[10:11], v[0:1]
	v_mul_f64 v[0:1], v[12:13], v[0:1]
	v_fma_f64 v[0:1], v[10:11], v[2:3], -v[0:1]
	v_mul_f64 v[6:7], v[0:1], s[0:1]
	ds_read_b128 v[0:3], v233 offset:12480
	v_mad_u64_u32 v[8:9], s[4:5], s8, v16, v[8:9]
	v_accvgpr_read_b32 v21, a13
	v_mul_f64 v[4:5], v[4:5], s[0:1]
	v_add_u32_e32 v9, s2, v9
	v_accvgpr_read_b32 v20, a12
	global_store_dwordx4 v[8:9], v[4:7], off
	ds_read_b128 v[4:7], v233 offset:13728
	v_accvgpr_read_b32 v19, a11
	v_accvgpr_read_b32 v18, a10
	s_waitcnt lgkmcnt(1)
	v_mul_f64 v[10:11], v[20:21], v[2:3]
	v_fmac_f64_e32 v[10:11], v[18:19], v[0:1]
	v_mul_f64 v[0:1], v[20:21], v[0:1]
	v_fma_f64 v[0:1], v[18:19], v[2:3], -v[0:1]
	v_mad_u64_u32 v[8:9], s[4:5], s8, v16, v[8:9]
	v_mul_f64 v[12:13], v[10:11], s[0:1]
	v_mul_f64 v[14:15], v[0:1], s[0:1]
	v_add_u32_e32 v9, s2, v9
	global_store_dwordx4 v[8:9], v[12:15], off
	v_accvgpr_read_b32 v10, a30
	v_accvgpr_read_b32 v12, a32
	v_accvgpr_read_b32 v13, a33
	v_accvgpr_read_b32 v11, a31
	s_waitcnt lgkmcnt(0)
	v_mul_f64 v[0:1], v[12:13], v[6:7]
	v_mul_f64 v[2:3], v[12:13], v[4:5]
	v_fmac_f64_e32 v[0:1], v[10:11], v[4:5]
	v_fma_f64 v[2:3], v[10:11], v[6:7], -v[2:3]
	ds_read_b128 v[4:7], v233 offset:14976
	v_mad_u64_u32 v[8:9], s[4:5], s8, v16, v[8:9]
	v_mul_f64 v[0:1], v[0:1], s[0:1]
	v_mul_f64 v[2:3], v[2:3], s[0:1]
	v_add_u32_e32 v9, s2, v9
	global_store_dwordx4 v[8:9], v[0:3], off
	s_waitcnt lgkmcnt(0)
	v_mul_f64 v[0:1], v[34:35], v[6:7]
	v_mul_f64 v[2:3], v[34:35], v[4:5]
	v_fmac_f64_e32 v[0:1], v[32:33], v[4:5]
	v_fma_f64 v[2:3], v[32:33], v[6:7], -v[2:3]
	v_mul_f64 v[0:1], v[0:1], s[0:1]
	v_mul_f64 v[2:3], v[2:3], s[0:1]
	v_mad_u64_u32 v[4:5], s[0:1], s8, v16, v[8:9]
	v_add_u32_e32 v5, s2, v5
	global_store_dwordx4 v[4:5], v[0:3], off
.LBB0_10:
	s_endpgm
	.section	.rodata,"a",@progbits
	.p2align	6, 0x0
	.amdhsa_kernel bluestein_single_back_len1014_dim1_dp_op_CI_CI
		.amdhsa_group_segment_fixed_size 32448
		.amdhsa_private_segment_fixed_size 0
		.amdhsa_kernarg_size 104
		.amdhsa_user_sgpr_count 6
		.amdhsa_user_sgpr_private_segment_buffer 1
		.amdhsa_user_sgpr_dispatch_ptr 0
		.amdhsa_user_sgpr_queue_ptr 0
		.amdhsa_user_sgpr_kernarg_segment_ptr 1
		.amdhsa_user_sgpr_dispatch_id 0
		.amdhsa_user_sgpr_flat_scratch_init 0
		.amdhsa_user_sgpr_kernarg_preload_length 0
		.amdhsa_user_sgpr_kernarg_preload_offset 0
		.amdhsa_user_sgpr_private_segment_size 0
		.amdhsa_uses_dynamic_stack 0
		.amdhsa_system_sgpr_private_segment_wavefront_offset 0
		.amdhsa_system_sgpr_workgroup_id_x 1
		.amdhsa_system_sgpr_workgroup_id_y 0
		.amdhsa_system_sgpr_workgroup_id_z 0
		.amdhsa_system_sgpr_workgroup_info 0
		.amdhsa_system_vgpr_workitem_id 0
		.amdhsa_next_free_vgpr 290
		.amdhsa_next_free_sgpr 46
		.amdhsa_accum_offset 256
		.amdhsa_reserve_vcc 1
		.amdhsa_reserve_flat_scratch 0
		.amdhsa_float_round_mode_32 0
		.amdhsa_float_round_mode_16_64 0
		.amdhsa_float_denorm_mode_32 3
		.amdhsa_float_denorm_mode_16_64 3
		.amdhsa_dx10_clamp 1
		.amdhsa_ieee_mode 1
		.amdhsa_fp16_overflow 0
		.amdhsa_tg_split 0
		.amdhsa_exception_fp_ieee_invalid_op 0
		.amdhsa_exception_fp_denorm_src 0
		.amdhsa_exception_fp_ieee_div_zero 0
		.amdhsa_exception_fp_ieee_overflow 0
		.amdhsa_exception_fp_ieee_underflow 0
		.amdhsa_exception_fp_ieee_inexact 0
		.amdhsa_exception_int_div_zero 0
	.end_amdhsa_kernel
	.text
.Lfunc_end0:
	.size	bluestein_single_back_len1014_dim1_dp_op_CI_CI, .Lfunc_end0-bluestein_single_back_len1014_dim1_dp_op_CI_CI
                                        ; -- End function
	.section	.AMDGPU.csdata,"",@progbits
; Kernel info:
; codeLenInByte = 22640
; NumSgprs: 50
; NumVgprs: 256
; NumAgprs: 34
; TotalNumVgprs: 290
; ScratchSize: 0
; MemoryBound: 0
; FloatMode: 240
; IeeeMode: 1
; LDSByteSize: 32448 bytes/workgroup (compile time only)
; SGPRBlocks: 6
; VGPRBlocks: 36
; NumSGPRsForWavesPerEU: 50
; NumVGPRsForWavesPerEU: 290
; AccumOffset: 256
; Occupancy: 1
; WaveLimiterHint : 1
; COMPUTE_PGM_RSRC2:SCRATCH_EN: 0
; COMPUTE_PGM_RSRC2:USER_SGPR: 6
; COMPUTE_PGM_RSRC2:TRAP_HANDLER: 0
; COMPUTE_PGM_RSRC2:TGID_X_EN: 1
; COMPUTE_PGM_RSRC2:TGID_Y_EN: 0
; COMPUTE_PGM_RSRC2:TGID_Z_EN: 0
; COMPUTE_PGM_RSRC2:TIDIG_COMP_CNT: 0
; COMPUTE_PGM_RSRC3_GFX90A:ACCUM_OFFSET: 63
; COMPUTE_PGM_RSRC3_GFX90A:TG_SPLIT: 0
	.text
	.p2alignl 6, 3212836864
	.fill 256, 4, 3212836864
	.type	__hip_cuid_ce91ed58bb38d96,@object ; @__hip_cuid_ce91ed58bb38d96
	.section	.bss,"aw",@nobits
	.globl	__hip_cuid_ce91ed58bb38d96
__hip_cuid_ce91ed58bb38d96:
	.byte	0                               ; 0x0
	.size	__hip_cuid_ce91ed58bb38d96, 1

	.ident	"AMD clang version 19.0.0git (https://github.com/RadeonOpenCompute/llvm-project roc-6.4.0 25133 c7fe45cf4b819c5991fe208aaa96edf142730f1d)"
	.section	".note.GNU-stack","",@progbits
	.addrsig
	.addrsig_sym __hip_cuid_ce91ed58bb38d96
	.amdgpu_metadata
---
amdhsa.kernels:
  - .agpr_count:     34
    .args:
      - .actual_access:  read_only
        .address_space:  global
        .offset:         0
        .size:           8
        .value_kind:     global_buffer
      - .actual_access:  read_only
        .address_space:  global
        .offset:         8
        .size:           8
        .value_kind:     global_buffer
      - .actual_access:  read_only
        .address_space:  global
        .offset:         16
        .size:           8
        .value_kind:     global_buffer
      - .actual_access:  read_only
        .address_space:  global
        .offset:         24
        .size:           8
        .value_kind:     global_buffer
      - .actual_access:  read_only
        .address_space:  global
        .offset:         32
        .size:           8
        .value_kind:     global_buffer
      - .offset:         40
        .size:           8
        .value_kind:     by_value
      - .address_space:  global
        .offset:         48
        .size:           8
        .value_kind:     global_buffer
      - .address_space:  global
        .offset:         56
        .size:           8
        .value_kind:     global_buffer
      - .address_space:  global
        .offset:         64
        .size:           8
        .value_kind:     global_buffer
      - .address_space:  global
        .offset:         72
        .size:           8
        .value_kind:     global_buffer
      - .offset:         80
        .size:           4
        .value_kind:     by_value
      - .address_space:  global
        .offset:         88
        .size:           8
        .value_kind:     global_buffer
      - .address_space:  global
        .offset:         96
        .size:           8
        .value_kind:     global_buffer
    .group_segment_fixed_size: 32448
    .kernarg_segment_align: 8
    .kernarg_segment_size: 104
    .language:       OpenCL C
    .language_version:
      - 2
      - 0
    .max_flat_workgroup_size: 156
    .name:           bluestein_single_back_len1014_dim1_dp_op_CI_CI
    .private_segment_fixed_size: 0
    .sgpr_count:     50
    .sgpr_spill_count: 0
    .symbol:         bluestein_single_back_len1014_dim1_dp_op_CI_CI.kd
    .uniform_work_group_size: 1
    .uses_dynamic_stack: false
    .vgpr_count:     290
    .vgpr_spill_count: 0
    .wavefront_size: 64
amdhsa.target:   amdgcn-amd-amdhsa--gfx90a
amdhsa.version:
  - 1
  - 2
...

	.end_amdgpu_metadata
